;; amdgpu-corpus repo=ROCm/rocFFT kind=compiled arch=gfx950 opt=O3
	.text
	.amdgcn_target "amdgcn-amd-amdhsa--gfx950"
	.amdhsa_code_object_version 6
	.protected	bluestein_single_fwd_len1188_dim1_sp_op_CI_CI ; -- Begin function bluestein_single_fwd_len1188_dim1_sp_op_CI_CI
	.globl	bluestein_single_fwd_len1188_dim1_sp_op_CI_CI
	.p2align	8
	.type	bluestein_single_fwd_len1188_dim1_sp_op_CI_CI,@function
bluestein_single_fwd_len1188_dim1_sp_op_CI_CI: ; @bluestein_single_fwd_len1188_dim1_sp_op_CI_CI
; %bb.0:
	s_load_dwordx4 s[16:19], s[0:1], 0x28
	v_mul_u32_u24_e32 v1, 0x3e1, v0
	v_lshrrev_b32_e32 v2, 16, v1
	v_mad_u64_u32 v[134:135], s[2:3], s2, 3, v[2:3]
	v_mov_b32_e32 v85, 0
	v_mov_b32_e32 v135, v85
	s_waitcnt lgkmcnt(0)
	v_cmp_gt_u64_e32 vcc, s[16:17], v[134:135]
	s_and_saveexec_b64 s[2:3], vcc
	s_cbranch_execz .LBB0_12
; %bb.1:
	s_load_dwordx4 s[4:7], s[0:1], 0x18
	s_load_dwordx4 s[8:11], s[0:1], 0x0
	v_mul_lo_u16_e32 v1, 0x42, v2
	v_sub_u16_e32 v84, v0, v1
	v_mov_b32_e32 v4, s18
	s_waitcnt lgkmcnt(0)
	s_load_dwordx4 s[12:15], s[4:5], 0x0
	v_mov_b32_e32 v5, s19
	v_lshlrev_b32_e32 v88, 3, v84
	global_load_dwordx2 v[66:67], v88, s[8:9]
	v_mov_b32_e32 v89, v85
	s_waitcnt lgkmcnt(0)
	v_mad_u64_u32 v[0:1], s[2:3], s14, v134, 0
	v_mov_b32_e32 v2, v1
	v_mad_u64_u32 v[2:3], s[2:3], s15, v134, v[2:3]
	v_mov_b32_e32 v1, v2
	;; [unrolled: 2-line block ×4, first 2 shown]
	v_lshl_add_u64 v[0:1], v[0:1], 3, v[4:5]
	v_lshl_add_u64 v[2:3], v[2:3], 3, v[0:1]
	global_load_dwordx2 v[0:1], v[2:3], off
	s_mov_b32 s2, 0xaaaaaaab
	v_mul_hi_u32 v4, v134, s2
	v_lshrrev_b32_e32 v4, 1, v4
	v_lshl_add_u32 v4, v4, 1, v4
	v_sub_u32_e32 v4, v134, v4
	v_mov_b32_e32 v42, 0x630
	s_movk_i32 s3, 0x1000
	v_mul_u32_u24_e32 v125, 0x4a4, v4
	v_lshl_add_u64 v[4:5], s[8:9], 0, v[88:89]
	s_mul_i32 s2, s13, 0xffffe320
	v_add_co_u32_e32 v6, vcc, s3, v4
	s_mul_i32 s14, s13, 0x630
	s_sub_i32 s13, s2, s12
	v_mad_u64_u32 v[2:3], s[2:3], s12, v42, v[2:3]
	v_add_u32_e32 v3, s14, v3
	v_mad_u64_u32 v[8:9], s[2:3], s12, v42, v[2:3]
	v_add_u32_e32 v9, s14, v9
	;; [unrolled: 2-line block ×3, first 2 shown]
	v_mad_u64_u32 v[12:13], s[2:3], s12, v42, v[10:11]
	v_addc_co_u32_e32 v7, vcc, 0, v5, vcc
	v_add_u32_e32 v13, s14, v13
	s_load_dwordx4 s[4:7], s[6:7], 0x0
	global_load_dwordx2 v[50:51], v88, s[8:9] offset:528
	global_load_dwordx2 v[48:49], v88, s[8:9] offset:2112
	;; [unrolled: 1-line block ×6, first 2 shown]
	global_load_dwordx2 v[70:71], v[6:7], off offset:3824
	global_load_dwordx2 v[76:77], v[6:7], off offset:656
	;; [unrolled: 1-line block ×5, first 2 shown]
	v_mov_b32_e32 v29, 0xffffe320
	global_load_dwordx2 v[2:3], v[2:3], off
	v_lshlrev_b32_e32 v90, 3, v125
	global_load_dwordx2 v[8:9], v[8:9], off
	s_nop 0
	global_load_dwordx2 v[14:15], v[10:11], off
	global_load_dwordx2 v[16:17], v[12:13], off
	v_mad_u64_u32 v[10:11], s[2:3], s12, v42, v[12:13]
	v_add_u32_e32 v11, s14, v11
	global_load_dwordx2 v[12:13], v[10:11], off
	v_mad_u64_u32 v[10:11], s[2:3], s12, v29, v[10:11]
	v_add_u32_e32 v11, s13, v11
	;; [unrolled: 3-line block ×7, first 2 shown]
	s_movk_i32 s2, 0x2000
	global_load_dwordx2 v[30:31], v[10:11], off
	v_add_co_u32_e32 v4, vcc, s2, v4
	v_mad_u64_u32 v[10:11], s[2:3], s12, v29, v[10:11]
	v_add_u32_e32 v11, s13, v11
	global_load_dwordx2 v[32:33], v[10:11], off
	v_mad_u64_u32 v[10:11], s[2:3], s12, v42, v[10:11]
	v_addc_co_u32_e32 v5, vcc, 0, v5, vcc
	v_add_u32_e32 v11, s14, v11
	global_load_dwordx2 v[64:65], v[4:5], off offset:256
	global_load_dwordx2 v[34:35], v[10:11], off
	global_load_dwordx2 v[58:59], v88, s[8:9] offset:2640
	v_mad_u64_u32 v[10:11], s[2:3], s12, v42, v[10:11]
	v_add_u32_e32 v11, s14, v11
	global_load_dwordx2 v[36:37], v[10:11], off
	global_load_dwordx2 v[54:55], v[6:7], off offset:1712
	global_load_dwordx2 v[60:61], v[6:7], off offset:128
	v_mad_u64_u32 v[10:11], s[2:3], s12, v42, v[10:11]
	v_add_u32_e32 v11, s14, v11
	s_waitcnt vmcnt(29)
	v_mul_f32_e32 v28, v1, v67
	global_load_dwordx2 v[38:39], v[10:11], off
	v_mad_u64_u32 v[10:11], s[2:3], s12, v42, v[10:11]
	v_fmac_f32_e32 v28, v0, v66
	v_mul_f32_e32 v0, v0, v67
	v_add_u32_e32 v11, s14, v11
	global_load_dwordx2 v[40:41], v[10:11], off
	global_load_dwordx2 v[56:57], v[6:7], off offset:3296
	v_fma_f32 v29, v1, v66, -v0
	v_mad_u64_u32 v[0:1], s[2:3], s12, v42, v[10:11]
	v_add_u32_e32 v1, s14, v1
	global_load_dwordx2 v[6:7], v[0:1], off
	global_load_dwordx2 v[42:43], v[4:5], off offset:784
	v_add_u32_e32 v135, v88, v90
	s_mov_b32 s2, 0x3f5db3d7
	s_mov_b32 s12, 0.5
	s_mov_b32 s13, s2
	v_accvgpr_write_b32 a26, v66
	v_accvgpr_write_b32 a27, v67
	s_waitcnt vmcnt(33)
	v_accvgpr_write_b32 a8, v50
	s_waitcnt vmcnt(32)
	v_accvgpr_write_b32 a6, v48
	v_accvgpr_write_b32 a7, v49
	s_waitcnt vmcnt(30)
	v_accvgpr_write_b32 a2, v46
	;; [unrolled: 3-line block ×3, first 2 shown]
	s_waitcnt vmcnt(23)
	v_accvgpr_write_b32 a16, v52
	v_accvgpr_write_b32 a17, v53
	s_waitcnt vmcnt(22)
	v_mul_f32_e32 v0, v3, v75
	v_mul_f32_e32 v1, v2, v75
	v_fmac_f32_e32 v0, v2, v74
	v_fma_f32 v1, v3, v74, -v1
	ds_write_b64 v135, v[0:1] offset:1584
	s_waitcnt vmcnt(21)
	v_mul_f32_e32 v0, v9, v69
	v_mul_f32_e32 v1, v8, v69
	v_fmac_f32_e32 v0, v8, v68
	v_fma_f32 v1, v9, v68, -v1
	ds_write_b64 v135, v[0:1] offset:3168
	;; [unrolled: 6-line block ×5, first 2 shown]
	s_waitcnt vmcnt(17)
	v_mul_f32_e32 v0, v19, v51
	v_mul_f32_e32 v1, v18, v51
	v_fmac_f32_e32 v0, v18, v50
	v_fma_f32 v1, v19, v50, -v1
	ds_write2_b64 v135, v[28:29], v[0:1] offset1:66
	s_waitcnt vmcnt(16)
	v_mul_f32_e32 v0, v21, v49
	v_mul_f32_e32 v1, v20, v49
	v_fmac_f32_e32 v0, v20, v48
	v_fma_f32 v1, v21, v48, -v1
	v_add_u32_e32 v14, 0x800, v135
	s_waitcnt vmcnt(15)
	v_mul_f32_e32 v2, v23, v47
	v_mul_f32_e32 v3, v22, v47
	s_waitcnt vmcnt(13)
	v_mul_f32_e32 v8, v27, v53
	s_waitcnt vmcnt(11)
	v_mul_f32_e32 v12, v33, v45
	v_mul_f32_e32 v13, v32, v45
	v_fmac_f32_e32 v12, v32, v44
	v_fma_f32 v13, v33, v44, -v13
	ds_write_b64 v135, v[12:13] offset:1056
	v_mul_f32_e32 v9, v26, v53
	v_fmac_f32_e32 v2, v22, v46
	s_waitcnt vmcnt(8)
	v_mul_f32_e32 v12, v35, v59
	v_mul_f32_e32 v13, v34, v59
	v_fmac_f32_e32 v12, v34, v58
	v_fma_f32 v13, v35, v58, -v13
	ds_write2_b64 v14, v[0:1], v[12:13] offset0:8 offset1:74
	s_waitcnt vmcnt(5)
	v_mul_f32_e32 v0, v37, v61
	v_mul_f32_e32 v1, v36, v61
	v_fma_f32 v3, v23, v46, -v3
	v_fmac_f32_e32 v8, v26, v52
	v_fma_f32 v9, v27, v52, -v9
	v_fmac_f32_e32 v0, v36, v60
	v_fma_f32 v1, v37, v60, -v1
	v_add_u32_e32 v52, 0xc00, v135
	v_mul_f32_e32 v4, v25, v63
	v_mul_f32_e32 v5, v24, v63
	ds_write2_b64 v52, v[2:3], v[0:1] offset0:78 offset1:144
	s_waitcnt vmcnt(4)
	v_mul_f32_e32 v0, v39, v55
	v_mul_f32_e32 v1, v38, v55
	v_fmac_f32_e32 v4, v24, v62
	v_fma_f32 v5, v25, v62, -v5
	v_fmac_f32_e32 v0, v38, v54
	v_fma_f32 v1, v39, v54, -v1
	v_add_u32_e32 v53, 0x1000, v135
	v_accvgpr_write_b32 a10, v54
	ds_write2_b64 v53, v[4:5], v[0:1] offset0:148 offset1:214
	s_waitcnt vmcnt(2)
	v_mul_f32_e32 v0, v41, v57
	v_mul_f32_e32 v1, v40, v57
	v_accvgpr_write_b32 a11, v55
	v_fmac_f32_e32 v0, v40, v56
	v_fma_f32 v1, v41, v56, -v1
	v_add_u32_e32 v54, 0x1800, v135
	v_mul_f32_e32 v10, v31, v65
	v_mul_f32_e32 v11, v30, v65
	ds_write2_b64 v54, v[8:9], v[0:1] offset0:90 offset1:156
	s_waitcnt vmcnt(0)
	v_mul_f32_e32 v0, v7, v43
	v_mul_f32_e32 v1, v6, v43
	v_fmac_f32_e32 v10, v30, v64
	v_fma_f32 v11, v31, v64, -v11
	v_fmac_f32_e32 v0, v6, v42
	v_fma_f32 v1, v7, v42, -v1
	v_add_u32_e32 v16, 0x2000, v135
	ds_write2_b64 v16, v[10:11], v[0:1] offset0:32 offset1:98
	s_waitcnt lgkmcnt(0)
	s_barrier
	ds_read2_b64 v[0:3], v14 offset0:140 offset1:206
	ds_read2_b64 v[4:7], v54 offset0:24 offset1:90
	;; [unrolled: 1-line block ×8, first 2 shown]
	s_waitcnt lgkmcnt(4)
	v_pk_add_f32 v[32:33], v[10:11], v[14:15]
	s_waitcnt lgkmcnt(3)
	v_pk_add_f32 v[40:41], v[14:15], v[18:19] neg_lo:[0,1] neg_hi:[0,1]
	v_pk_add_f32 v[36:37], v[32:33], v[18:19]
	v_pk_add_f32 v[32:33], v[14:15], v[18:19]
	s_waitcnt lgkmcnt(1)
	v_mov_b32_e32 v14, v25
	v_pk_fma_f32 v[38:39], v[32:33], 0.5, v[10:11] op_sel_hi:[1,0,1] neg_lo:[1,0,0] neg_hi:[1,0,0]
	ds_read2_b64 v[32:35], v135 offset1:66
	v_mov_b32_e32 v10, v21
	v_pk_add_f32 v[10:11], v[10:11], v[14:15]
	s_waitcnt lgkmcnt(1)
	v_mov_b32_e32 v18, v29
	v_accvgpr_write_b32 a12, v42
	v_pk_add_f32 v[10:11], v[10:11], v[18:19]
	v_pk_add_f32 v[14:15], v[8:9], v[12:13]
	;; [unrolled: 1-line block ×3, first 2 shown]
	v_accvgpr_write_b32 a13, v43
	v_pk_add_f32 v[14:15], v[14:15], v[16:17]
	v_pk_add_f32 v[12:13], v[12:13], v[16:17] neg_lo:[0,1] neg_hi:[0,1]
	v_pk_add_f32 v[16:17], v[2:3], v[6:7]
	v_pk_fma_f32 v[8:9], v[18:19], 0.5, v[8:9] op_sel_hi:[1,0,1] neg_lo:[1,0,0] neg_hi:[1,0,0]
	v_pk_add_f32 v[18:19], v[2:3], v[6:7] neg_lo:[0,1] neg_hi:[0,1]
	s_waitcnt lgkmcnt(0)
	v_pk_add_f32 v[2:3], v[34:35], v[2:3]
	v_pk_add_f32 v[42:43], v[32:33], v[0:1]
	v_accvgpr_write_b32 a1, v45
	v_pk_add_f32 v[44:45], v[0:1], v[4:5]
	v_pk_add_f32 v[0:1], v[0:1], v[4:5] neg_lo:[0,1] neg_hi:[0,1]
	v_pk_add_f32 v[6:7], v[2:3], v[6:7]
	v_pk_add_f32 v[4:5], v[42:43], v[4:5]
	;; [unrolled: 1-line block ×4, first 2 shown]
	v_pk_add_f32 v[24:25], v[24:25], v[28:29] neg_lo:[0,1] neg_hi:[0,1]
	v_pk_add_f32 v[28:29], v[2:3], v[28:29]
	v_pk_fma_f32 v[16:17], v[16:17], 0.5, v[34:35] op_sel_hi:[1,0,1] neg_lo:[1,0,0] neg_hi:[1,0,0]
	v_pk_fma_f32 v[2:3], v[44:45], 0.5, v[32:33] op_sel_hi:[1,0,1] neg_lo:[1,0,0] neg_hi:[1,0,0]
	v_pk_mul_f32 v[18:19], v[18:19], s[2:3] op_sel_hi:[1,0]
	v_pk_mul_f32 v[24:25], v[24:25], s[2:3] op_sel_hi:[1,0]
	v_pk_fma_f32 v[32:33], v[40:41], s[2:3], v[38:39] op_sel:[0,0,1] op_sel_hi:[1,0,0]
	v_pk_fma_f32 v[34:35], v[40:41], s[2:3], v[38:39] op_sel:[0,0,1] op_sel_hi:[1,0,0] neg_lo:[1,0,0] neg_hi:[1,0,0]
	s_mov_b32 s3, 0xbf5db3d7
	v_pk_add_f32 v[48:49], v[26:27], v[30:31]
	v_mov_b32_e32 v38, v32
	v_mov_b32_e32 v39, v35
	v_pk_fma_f32 v[44:45], v[12:13], s[2:3], v[8:9] op_sel:[0,0,1] op_sel_hi:[1,0,0]
	v_pk_fma_f32 v[8:9], v[12:13], s[2:3], v[8:9] op_sel:[0,0,1] op_sel_hi:[1,0,0] neg_lo:[1,0,0] neg_hi:[1,0,0]
	v_pk_add_f32 v[46:47], v[22:23], v[26:27]
	v_pk_mul_f32 v[40:41], v[38:39], 0.5 op_sel_hi:[1,0]
	v_pk_fma_f32 v[12:13], v[42:43], 0.5, v[20:21] op_sel_hi:[1,0,1] neg_lo:[1,0,0] neg_hi:[1,0,0]
	v_pk_fma_f32 v[20:21], v[48:49], 0.5, v[22:23] op_sel_hi:[1,0,1] neg_lo:[1,0,0] neg_hi:[1,0,0]
	v_mov_b32_e32 v22, v44
	v_mov_b32_e32 v23, v9
	v_pk_add_f32 v[26:27], v[26:27], v[30:31] neg_lo:[0,1] neg_hi:[0,1]
	v_pk_fma_f32 v[38:39], v[38:39], s[2:3], v[40:41] op_sel:[0,0,1] op_sel_hi:[1,1,0] neg_lo:[0,0,1] neg_hi:[0,0,1]
	v_pk_mul_f32 v[40:41], v[22:23], 0.5 op_sel_hi:[1,0]
	v_pk_mul_f32 v[0:1], v[0:1], s[2:3] op_sel_hi:[1,0]
	v_pk_fma_f32 v[22:23], v[22:23], s[2:3], v[40:41] op_sel:[0,0,1] op_sel_hi:[1,1,0] neg_lo:[0,0,1] neg_hi:[0,0,1]
	v_pk_add_f32 v[40:41], v[2:3], v[0:1] op_sel:[0,1] op_sel_hi:[1,0]
	v_pk_add_f32 v[42:43], v[2:3], v[0:1] op_sel:[0,1] op_sel_hi:[1,0] neg_lo:[0,1] neg_hi:[0,1]
	v_pk_fma_f32 v[0:1], v[26:27], s[2:3], v[20:21] op_sel:[0,0,1] op_sel_hi:[1,0,0]
	v_pk_fma_f32 v[2:3], v[26:27], s[2:3], v[20:21] op_sel:[0,0,1] op_sel_hi:[1,0,0] neg_lo:[1,0,0] neg_hi:[1,0,0]
	v_mov_b32_e32 v20, v0
	v_mov_b32_e32 v21, v3
	v_pk_mul_f32 v[26:27], v[20:21], 0.5 op_sel_hi:[1,0]
	v_pk_mul_f32 v[0:1], v[0:1], s[12:13] op_sel:[1,0]
	v_pk_fma_f32 v[20:21], v[20:21], s[2:3], v[26:27] op_sel:[0,0,1] op_sel_hi:[1,1,0] neg_lo:[0,0,1] neg_hi:[0,0,1]
	s_mov_b32 s3, s12
	v_pk_fma_f32 v[26:27], v[2:3], s[2:3], v[0:1]
	v_pk_fma_f32 v[0:1], v[2:3], s[2:3], v[0:1] op_sel_hi:[0,1,1] neg_lo:[0,0,1] neg_hi:[0,0,1]
	v_pk_add_f32 v[30:31], v[46:47], v[30:31]
	v_mov_b32_e32 v27, v1
	v_mul_lo_u16_e32 v0, 6, v84
	v_mov_b32_e32 v46, v40
	v_mov_b32_e32 v47, v43
	v_lshl_add_u32 v89, v0, 3, v90
	v_pk_add_f32 v[0:1], v[4:5], v[30:31]
	v_pk_add_f32 v[2:3], v[46:47], v[26:27]
	v_mov_b32_e32 v43, v41
	s_barrier
	ds_write_b128 v89, v[0:3]
	v_pk_add_f32 v[2:3], v[4:5], v[30:31] neg_lo:[0,1] neg_hi:[0,1]
	v_pk_add_f32 v[0:1], v[42:43], v[20:21]
	ds_write_b128 v89, v[0:3] offset:16
	v_pk_add_f32 v[2:3], v[12:13], v[24:25] op_sel:[0,1] op_sel_hi:[1,0] neg_lo:[0,1] neg_hi:[0,1]
	v_pk_add_f32 v[4:5], v[12:13], v[24:25] op_sel:[0,1] op_sel_hi:[1,0]
	v_accvgpr_write_b32 a30, v70
	v_pk_add_f32 v[48:49], v[16:17], v[18:19] op_sel:[0,1] op_sel_hi:[1,0]
	v_pk_add_f32 v[16:17], v[16:17], v[18:19] op_sel:[0,1] op_sel_hi:[1,0] neg_lo:[0,1] neg_hi:[0,1]
	s_load_dwordx2 s[12:13], s[0:1], 0x38
	s_mov_b64 s[0:1], 0x42
	v_mul_f32_e32 v18, 0xbf5db3d7, v33
	v_mov_b32_e32 v4, v2
	v_accvgpr_write_b32 a31, v71
	v_mov_b32_e32 v0, v25
	v_mul_f32_e32 v13, 0.5, v33
	v_mul_f32_e32 v1, 0x3f5db3d7, v34
	v_lshl_add_u64 v[80:81], v[84:85], 0, s[0:1]
	v_fmac_f32_e32 v18, 0.5, v34
	v_mov_b32_e32 v24, v3
	v_mov_b32_e32 v25, v28
	;; [unrolled: 1-line block ×3, first 2 shown]
	v_pk_add_f32 v[70:71], v[4:5], v[38:39]
	v_pk_add_f32 v[40:41], v[4:5], v[38:39] neg_lo:[0,1] neg_hi:[0,1]
	v_mul_f32_e32 v5, 0x3f5db3d7, v8
	v_pk_add_f32 v[12:13], v[12:13], v[0:1]
	v_pk_add_f32 v[82:83], v[24:25], v[18:19]
	v_pk_add_f32 v[0:1], v[46:47], v[26:27] neg_lo:[0,1] neg_hi:[0,1]
	v_pk_add_f32 v[2:3], v[42:43], v[20:21] neg_lo:[0,1] neg_hi:[0,1]
	;; [unrolled: 1-line block ×3, first 2 shown]
	v_mul_u32_u24_e32 v4, 6, v80
	v_fmac_f32_e32 v5, 0.5, v45
	v_mul_f32_e32 v18, 0xbf5db3d7, v45
	v_lshl_add_u32 v121, v4, 3, v90
	ds_write_b128 v89, v[0:3] offset:32
	v_add_f32_e32 v2, v48, v5
	v_pk_add_f32 v[0:1], v[6:7], v[14:15]
	v_fmac_f32_e32 v18, 0.5, v8
	v_mov_b32_e32 v19, v22
	ds_write_b96 v121, v[0:2]
	v_pk_add_f32 v[0:1], v[16:17], v[18:19] op_sel:[1,0] op_sel_hi:[0,1]
	ds_write2_b32 v121, v0, v1 offset0:3 offset1:4
	v_mov_b32_e32 v0, v49
	v_mov_b32_e32 v1, v6
	v_mov_b32_e32 v2, v23
	v_mov_b32_e32 v3, v14
	v_pk_add_f32 v[8:9], v[0:1], v[2:3]
	v_pk_add_f32 v[0:1], v[0:1], v[2:3] neg_lo:[0,1] neg_hi:[0,1]
	s_mov_b64 s[0:1], 0x84
	ds_write2_b32 v121, v8, v1 offset0:5 offset1:6
	v_mov_b32_e32 v0, v7
	v_mov_b32_e32 v1, v48
	;; [unrolled: 1-line block ×3, first 2 shown]
	v_lshl_add_u64 v[30:31], v[84:85], 0, s[0:1]
	v_pk_add_f32 v[0:1], v[0:1], v[4:5] neg_lo:[0,1] neg_hi:[0,1]
	v_mov_b32_e32 v4, v10
	v_mov_b32_e32 v5, v12
	;; [unrolled: 1-line block ×5, first 2 shown]
	v_mul_u32_u24_e32 v3, 6, v30
	v_pk_add_f32 v[46:47], v[4:5], v[12:13]
	v_sub_f32_e32 v20, v17, v18
	v_pk_add_f32 v[44:45], v[28:29], v[22:23] neg_lo:[0,1] neg_hi:[0,1]
	ds_write2_b32 v121, v0, v1 offset0:7 offset1:8
	ds_write_b32 v121, v20 offset:36
	ds_write_b64 v121, v[44:45] offset:40
	v_lshl_add_u32 v124, v3, 3, v90
	v_mov_b32_e32 v0, v83
	v_mov_b32_e32 v1, v46
	;; [unrolled: 1-line block ×3, first 2 shown]
	v_accvgpr_write_b32 a22, v62
	v_accvgpr_write_b32 a24, v64
	;; [unrolled: 1-line block ×5, first 2 shown]
	ds_write_b96 v124, v[0:2]
	v_add_lshl_u32 v0, v125, v3, 3
	v_pk_add_f32 v[92:93], v[4:5], v[12:13] neg_lo:[0,1] neg_hi:[0,1]
	v_add_u32_e32 v1, 0x400, v135
	v_accvgpr_write_b32 a9, v51
	v_accvgpr_write_b32 a23, v63
	;; [unrolled: 1-line block ×6, first 2 shown]
	ds_write2_b32 v0, v82, v70 offset0:3 offset1:4
	ds_write2_b32 v0, v71, v87 offset0:5 offset1:6
	;; [unrolled: 1-line block ×4, first 2 shown]
	ds_write_b32 v0, v41 offset:44
	s_waitcnt lgkmcnt(0)
	s_barrier
	ds_read2_b64 v[48:51], v135 offset1:108
	ds_read2_b64 v[64:67], v1 offset0:88 offset1:196
	ds_read2_b64 v[60:63], v52 offset0:48 offset1:156
	;; [unrolled: 1-line block ×3, first 2 shown]
	ds_read_b64 v[118:119], v135 offset:8640
	ds_read2_b64 v[52:55], v54 offset0:96 offset1:204
	v_accvgpr_write_b32 a34, v74
	v_accvgpr_write_b32 a28, v68
	;; [unrolled: 1-line block ×9, first 2 shown]
	v_cmp_gt_u16_e32 vcc, 42, v84
	v_cmp_lt_u16_e64 s[0:1], 41, v84
                                        ; implicit-def: $vgpr74
	s_and_saveexec_b64 s[2:3], s[0:1]
	s_xor_b64 s[2:3], exec, s[2:3]
; %bb.2:
	v_mov_b32_e32 v68, v47
	v_mov_b32_e32 v74, v93
; %bb.3:
	s_or_saveexec_b64 s[2:3], s[2:3]
                                        ; implicit-def: $vgpr94
                                        ; implicit-def: $vgpr76
                                        ; implicit-def: $vgpr102
                                        ; implicit-def: $vgpr98
                                        ; implicit-def: $vgpr96
                                        ; implicit-def: $vgpr100
	s_xor_b64 exec, exec, s[2:3]
	s_cbranch_execz .LBB0_5
; %bb.4:
	v_add_u32_e32 v1, 0x800, v135
	ds_read2_b64 v[68:71], v1 offset0:26 offset1:134
	v_add_u32_e32 v1, 0xc00, v135
	ds_read2_b64 v[72:75], v1 offset0:114 offset1:222
	;; [unrolled: 2-line block ×4, first 2 shown]
	ds_read2_b64 v[76:79], v1 offset0:34 offset1:142
	ds_read_b64 v[96:97], v135 offset:9168
	s_waitcnt lgkmcnt(5)
	v_mov_b32_e32 v82, v69
	s_waitcnt lgkmcnt(4)
	v_mov_b32_e32 v86, v75
	v_mov_b32_e32 v87, v72
	s_waitcnt lgkmcnt(2)
	v_mov_b32_e32 v83, v46
	v_mov_b32_e32 v92, v73
	;; [unrolled: 1-line block ×4, first 2 shown]
	s_waitcnt lgkmcnt(1)
	v_mov_b32_e32 v102, v77
	v_mov_b32_e32 v98, v79
	s_waitcnt lgkmcnt(0)
	v_mov_b32_e32 v100, v97
.LBB0_5:
	s_or_b64 exec, exec, s[2:3]
	v_or_b32_e32 v0, 4, v0
	s_movk_i32 s2, 0xab
	v_accvgpr_write_b32 a45, v0
	v_mul_lo_u16_sdwa v0, v84, s2 dst_sel:DWORD dst_unused:UNUSED_PAD src0_sel:BYTE_0 src1_sel:DWORD
	v_lshrrev_b16_e32 v81, 10, v0
	v_mul_lo_u16_e32 v0, 6, v81
	v_sub_u16_e32 v91, v84, v0
	v_mov_b32_e32 v2, 10
	v_mul_u32_u24_sdwa v0, v91, v2 dst_sel:DWORD dst_unused:UNUSED_PAD src0_sel:BYTE_0 src1_sel:DWORD
	v_lshlrev_b32_e32 v3, 3, v0
	global_load_dwordx4 v[24:27], v3, s[10:11] offset:48
	global_load_dwordx4 v[28:31], v3, s[10:11] offset:32
	;; [unrolled: 1-line block ×3, first 2 shown]
	global_load_dwordx4 v[20:23], v3, s[10:11]
	global_load_dwordx4 v[36:39], v3, s[10:11] offset:64
	v_mov_b32_e32 v69, 0
	v_accvgpr_write_b32 a4, v84
	v_accvgpr_write_b32 a5, v85
	s_mov_b32 s14, 0xbf4178ce
	s_mov_b32 s20, 0x3f7d64f0
	;; [unrolled: 1-line block ×19, first 2 shown]
	v_accvgpr_write_b32 a38, v90
	v_accvgpr_read_b32 v120, a38
	s_waitcnt vmcnt(1)
	v_mov_b32_e32 v0, v21
	s_waitcnt lgkmcnt(5)
	v_pk_mul_f32 v[0:1], v[50:51], v[0:1] op_sel:[1,0] op_sel_hi:[0,1]
	v_pk_fma_f32 v[174:175], v[50:51], v[20:21], v[0:1] neg_lo:[0,0,1] neg_hi:[0,0,1]
	v_pk_mul_f32 v[0:1], v[50:51], v[20:21] op_sel:[1,0] op_sel_hi:[0,1]
	v_mov_b32_e32 v0, v1
	v_pk_fma_f32 v[172:173], v[50:51], v[20:21], v[0:1] op_sel:[1,0,0] op_sel_hi:[0,1,1]
	v_mul_lo_u16_sdwa v0, v80, s2 dst_sel:DWORD dst_unused:UNUSED_PAD src0_sel:BYTE_0 src1_sel:DWORD
	v_lshrrev_b16_e32 v0, 10, v0
	v_accvgpr_write_b32 a39, v0
	v_mul_lo_u16_e32 v0, 6, v0
	v_sub_u16_e32 v0, v80, v0
	v_accvgpr_write_b32 a44, v0
	v_mul_u32_u24_sdwa v0, v0, v2 dst_sel:DWORD dst_unused:UNUSED_PAD src0_sel:BYTE_0 src1_sel:DWORD
	v_lshlrev_b32_e32 v0, 3, v0
	global_load_dwordx4 v[4:7], v0, s[10:11] offset:48
	global_load_dwordx4 v[104:107], v0, s[10:11] offset:32
	;; [unrolled: 1-line block ×3, first 2 shown]
	global_load_dwordx4 v[12:15], v0, s[10:11]
	global_load_dwordx4 v[16:19], v0, s[10:11] offset:64
	s_mov_b32 s2, 0xbf27a4f4
	s_waitcnt lgkmcnt(0)
	s_barrier
	s_waitcnt vmcnt(3)
	v_accvgpr_write_b32 a40, v104
	v_accvgpr_write_b32 a41, v105
	s_waitcnt vmcnt(1)
	v_pk_mul_f32 v[46:47], v[46:47], v[12:13] op_sel_hi:[0,1]
	v_pk_fma_f32 v[72:73], v[82:83], v[12:13], v[46:47] op_sel:[1,0,1] op_sel_hi:[1,1,0] neg_lo:[0,0,1] neg_hi:[0,0,1]
	v_pk_fma_f32 v[46:47], v[82:83], v[12:13], v[46:47] op_sel:[1,0,1] op_sel_hi:[1,1,0]
	v_accvgpr_write_b32 a42, v106
	v_mov_b32_e32 v73, v47
	v_pk_mul_f32 v[46:47], v[82:83], v[14:15] op_sel_hi:[0,1]
	v_pk_fma_f32 v[82:83], v[68:69], v[14:15], v[46:47] op_sel:[0,0,1] op_sel_hi:[1,1,0] neg_lo:[0,0,1] neg_hi:[0,0,1]
	v_pk_fma_f32 v[46:47], v[68:69], v[14:15], v[46:47] op_sel:[0,0,1] op_sel_hi:[0,1,0]
	v_mov_b32_e32 v83, v47
	v_pk_mul_f32 v[46:47], v[70:71], v[8:9] op_sel:[1,0]
	v_accvgpr_write_b32 a43, v107
	v_pk_fma_f32 v[84:85], v[70:71], v[8:9], v[46:47] op_sel:[0,0,1] op_sel_hi:[1,1,0] neg_lo:[0,0,1] neg_hi:[0,0,1]
	v_pk_fma_f32 v[46:47], v[70:71], v[8:9], v[46:47] op_sel:[0,0,1] op_sel_hi:[0,1,0]
	v_mov_b32_e32 v85, v47
	v_pk_mul_f32 v[46:47], v[92:93], v[10:11] op_sel_hi:[0,1]
	v_pk_fma_f32 v[70:71], v[86:87], v[10:11], v[46:47] op_sel:[1,0,1] op_sel_hi:[1,1,0] neg_lo:[0,0,1] neg_hi:[0,0,1]
	v_pk_fma_f32 v[46:47], v[86:87], v[10:11], v[46:47] op_sel:[1,0,1] op_sel_hi:[1,1,0]
	v_mov_b32_e32 v68, v23
	v_mov_b32_e32 v71, v47
	v_pk_mul_f32 v[46:47], v[86:87], v[104:105] op_sel_hi:[0,1]
	v_pk_fma_f32 v[86:87], v[74:75], v[104:105], v[46:47] op_sel:[0,0,1] op_sel_hi:[1,1,0] neg_lo:[0,0,1] neg_hi:[0,0,1]
	v_pk_fma_f32 v[46:47], v[74:75], v[104:105], v[46:47] op_sel:[0,0,1] op_sel_hi:[0,1,0]
	v_mov_b32_e32 v87, v47
	v_pk_mul_f32 v[46:47], v[40:41], v[106:107] op_sel:[1,0]
	s_nop 0
	v_pk_fma_f32 v[74:75], v[40:41], v[106:107], v[46:47] op_sel:[0,0,1] op_sel_hi:[1,1,0] neg_lo:[0,0,1] neg_hi:[0,0,1]
	v_pk_fma_f32 v[40:41], v[40:41], v[106:107], v[46:47] op_sel:[0,0,1] op_sel_hi:[0,1,0]
	v_mov_b32_e32 v75, v41
	v_pk_mul_f32 v[40:41], v[94:95], v[4:5] op_sel_hi:[0,1]
	v_pk_fma_f32 v[92:93], v[42:43], v[4:5], v[40:41] op_sel:[0,0,1] op_sel_hi:[1,1,0] neg_lo:[0,0,1] neg_hi:[0,0,1]
	v_pk_fma_f32 v[40:41], v[42:43], v[4:5], v[40:41] op_sel:[0,0,1] op_sel_hi:[0,1,0]
	v_mov_b32_e32 v93, v41
	v_pk_mul_f32 v[40:41], v[102:103], v[6:7] op_sel_hi:[0,1]
	v_pk_fma_f32 v[94:95], v[76:77], v[6:7], v[40:41] op_sel:[0,0,1] op_sel_hi:[1,1,0] neg_lo:[0,0,1] neg_hi:[0,0,1]
	v_pk_fma_f32 v[40:41], v[76:77], v[6:7], v[40:41] op_sel:[0,0,1] op_sel_hi:[0,1,0]
	v_mov_b32_e32 v95, v41
	s_waitcnt vmcnt(0)
	v_pk_mul_f32 v[40:41], v[98:99], v[16:17] op_sel_hi:[0,1]
	v_pk_fma_f32 v[76:77], v[78:79], v[16:17], v[40:41] op_sel:[0,0,1] op_sel_hi:[1,1,0] neg_lo:[0,0,1] neg_hi:[0,0,1]
	v_pk_fma_f32 v[40:41], v[78:79], v[16:17], v[40:41] op_sel:[0,0,1] op_sel_hi:[0,1,0]
	v_mov_b32_e32 v77, v41
	v_pk_mul_f32 v[40:41], v[100:101], v[18:19] op_sel_hi:[0,1]
	v_pk_fma_f32 v[78:79], v[96:97], v[18:19], v[40:41] op_sel:[0,0,1] op_sel_hi:[1,1,0] neg_lo:[0,0,1] neg_hi:[0,0,1]
	v_pk_fma_f32 v[40:41], v[96:97], v[18:19], v[40:41] op_sel:[0,0,1] op_sel_hi:[0,1,0]
	v_mov_b32_e32 v79, v41
	v_pk_add_f32 v[96:97], v[72:73], v[78:79] neg_lo:[0,1] neg_hi:[0,1]
	v_pk_add_f32 v[50:51], v[72:73], v[78:79]
	v_pk_mul_f32 v[40:41], v[96:97], s[14:15] op_sel:[1,0] op_sel_hi:[0,0]
	v_pk_add_f32 v[114:115], v[82:83], v[76:77] neg_lo:[0,1] neg_hi:[0,1]
	v_pk_fma_f32 v[0:1], v[50:51], s[2:3], v[40:41] op_sel_hi:[1,0,1]
	v_pk_fma_f32 v[102:103], v[50:51], s[2:3], v[40:41] op_sel_hi:[1,0,1] neg_lo:[0,0,1] neg_hi:[0,0,1]
	v_pk_add_f32 v[98:99], v[82:83], v[76:77]
	v_pk_mul_f32 v[42:43], v[114:115], s[20:21] op_sel:[1,0] op_sel_hi:[0,0]
	v_accvgpr_write_b32 a53, v1
	v_mov_b32_e32 v40, v0
	v_mov_b32_e32 v41, v103
	v_pk_fma_f32 v[0:1], v[98:99], s[16:17], v[42:43] op_sel_hi:[1,0,1]
	v_pk_fma_f32 v[108:109], v[98:99], s[16:17], v[42:43] op_sel_hi:[1,0,1] neg_lo:[0,0,1] neg_hi:[0,0,1]
	v_pk_add_f32 v[40:41], v[44:45], v[40:41]
	v_mov_b32_e32 v42, v0
	v_mov_b32_e32 v43, v109
	v_pk_add_f32 v[116:117], v[84:85], v[94:95] neg_lo:[0,1] neg_hi:[0,1]
	v_pk_add_f32 v[40:41], v[42:43], v[40:41]
	v_pk_add_f32 v[104:105], v[84:85], v[94:95]
	v_pk_mul_f32 v[42:43], v[116:117], s[22:23] op_sel:[1,0] op_sel_hi:[0,0]
	v_accvgpr_write_b32 a55, v1
	v_pk_fma_f32 v[0:1], v[104:105], s[18:19], v[42:43] op_sel_hi:[1,0,1]
	v_pk_fma_f32 v[112:113], v[104:105], s[18:19], v[42:43] op_sel_hi:[1,0,1] neg_lo:[0,0,1] neg_hi:[0,0,1]
	v_mov_b32_e32 v42, v0
	v_mov_b32_e32 v43, v113
	v_pk_add_f32 v[170:171], v[70:71], v[92:93] neg_lo:[0,1] neg_hi:[0,1]
	v_pk_add_f32 v[40:41], v[42:43], v[40:41]
	v_pk_add_f32 v[162:163], v[70:71], v[92:93]
	v_pk_mul_f32 v[42:43], v[170:171], s[26:27] op_sel:[1,0] op_sel_hi:[0,0]
	v_accvgpr_write_b32 a57, v1
	v_pk_fma_f32 v[0:1], v[162:163], s[24:25], v[42:43] op_sel_hi:[1,0,1]
	v_pk_fma_f32 v[168:169], v[162:163], s[24:25], v[42:43] op_sel_hi:[1,0,1] neg_lo:[0,0,1] neg_hi:[0,0,1]
	v_mov_b32_e32 v42, v0
	v_mov_b32_e32 v43, v169
	v_pk_add_f32 v[46:47], v[42:43], v[40:41]
	v_pk_mul_f32 v[40:41], v[96:97], s[22:23] op_sel:[1,0] op_sel_hi:[0,0]
	v_accvgpr_write_b32 a59, v1
	v_pk_fma_f32 v[0:1], v[50:51], s[18:19], v[40:41] op_sel_hi:[1,0,1]
	v_pk_fma_f32 v[178:179], v[50:51], s[18:19], v[40:41] op_sel_hi:[1,0,1] neg_lo:[0,0,1] neg_hi:[0,0,1]
	v_pk_mul_f32 v[42:43], v[114:115], s[34:35] op_sel:[1,0] op_sel_hi:[0,0]
	v_mov_b32_e32 v103, v1
	v_mov_b32_e32 v40, v0
	;; [unrolled: 1-line block ×3, first 2 shown]
	v_pk_fma_f32 v[0:1], v[98:99], s[28:29], v[42:43] op_sel_hi:[1,0,1]
	v_pk_fma_f32 v[184:185], v[98:99], s[28:29], v[42:43] op_sel_hi:[1,0,1] neg_lo:[0,0,1] neg_hi:[0,0,1]
	v_pk_add_f32 v[40:41], v[44:45], v[40:41]
	v_mov_b32_e32 v42, v0
	v_mov_b32_e32 v43, v185
	v_pk_add_f32 v[40:41], v[42:43], v[40:41]
	v_pk_mul_f32 v[42:43], v[116:117], s[30:31] op_sel:[1,0] op_sel_hi:[0,0]
	v_mov_b32_e32 v109, v1
	v_pk_fma_f32 v[0:1], v[104:105], s[16:17], v[42:43] op_sel_hi:[1,0,1]
	v_pk_fma_f32 v[188:189], v[104:105], s[16:17], v[42:43] op_sel_hi:[1,0,1] neg_lo:[0,0,1] neg_hi:[0,0,1]
	v_mov_b32_e32 v42, v0
	v_mov_b32_e32 v43, v189
	v_pk_add_f32 v[40:41], v[42:43], v[40:41]
	v_pk_mul_f32 v[42:43], v[170:171], s[14:15] op_sel:[1,0] op_sel_hi:[0,0]
	v_mov_b32_e32 v113, v1
	v_pk_fma_f32 v[0:1], v[162:163], s[2:3], v[42:43] op_sel_hi:[1,0,1]
	v_pk_fma_f32 v[192:193], v[162:163], s[2:3], v[42:43] op_sel_hi:[1,0,1] neg_lo:[0,0,1] neg_hi:[0,0,1]
	v_pk_add_f32 v[180:181], v[86:87], v[74:75] neg_lo:[0,1] neg_hi:[0,1]
	v_mov_b32_e32 v42, v0
	v_mov_b32_e32 v43, v193
	v_pk_add_f32 v[164:165], v[86:87], v[74:75]
	v_pk_add_f32 v[40:41], v[42:43], v[40:41]
	v_pk_mul_f32 v[42:43], v[180:181], s[26:27] op_sel:[1,0] op_sel_hi:[0,0]
	v_mov_b32_e32 v169, v1
	v_pk_fma_f32 v[0:1], v[164:165], s[24:25], v[42:43] op_sel_hi:[1,0,1]
	v_pk_fma_f32 v[196:197], v[164:165], s[24:25], v[42:43] op_sel_hi:[1,0,1] neg_lo:[0,0,1] neg_hi:[0,0,1]
	v_mov_b32_e32 v42, v0
	v_mov_b32_e32 v43, v197
	v_accvgpr_write_b32 a61, v1
	v_pk_add_f32 v[0:1], v[42:43], v[40:41]
	v_pk_mul_f32 v[40:41], v[96:97], s[34:35] op_sel:[1,0] op_sel_hi:[0,0]
	v_accvgpr_write_b32 a47, v1
	v_accvgpr_write_b32 a46, v0
	v_pk_fma_f32 v[0:1], v[50:51], s[28:29], v[40:41] op_sel_hi:[1,0,1]
	v_pk_fma_f32 v[200:201], v[50:51], s[28:29], v[40:41] op_sel_hi:[1,0,1] neg_lo:[0,0,1] neg_hi:[0,0,1]
	v_pk_mul_f32 v[42:43], v[114:115], s[14:15] op_sel:[1,0] op_sel_hi:[0,0]
	v_accvgpr_write_b32 a63, v1
	v_mov_b32_e32 v40, v0
	v_mov_b32_e32 v41, v201
	v_pk_fma_f32 v[0:1], v[98:99], s[2:3], v[42:43] op_sel_hi:[1,0,1]
	v_pk_fma_f32 v[204:205], v[98:99], s[2:3], v[42:43] op_sel_hi:[1,0,1] neg_lo:[0,0,1] neg_hi:[0,0,1]
	v_pk_add_f32 v[40:41], v[44:45], v[40:41]
	v_mov_b32_e32 v42, v0
	v_mov_b32_e32 v43, v205
	v_pk_add_f32 v[40:41], v[42:43], v[40:41]
	v_pk_mul_f32 v[42:43], v[116:117], s[40:41] op_sel:[1,0] op_sel_hi:[0,0]
	v_accvgpr_write_b32 a65, v1
	v_pk_fma_f32 v[0:1], v[104:105], s[24:25], v[42:43] op_sel_hi:[1,0,1]
	v_pk_fma_f32 v[208:209], v[104:105], s[24:25], v[42:43] op_sel_hi:[1,0,1] neg_lo:[0,0,1] neg_hi:[0,0,1]
	v_mov_b32_e32 v42, v0
	v_mov_b32_e32 v43, v209
	v_pk_add_f32 v[40:41], v[42:43], v[40:41]
	v_pk_mul_f32 v[42:43], v[170:171], s[20:21] op_sel:[1,0] op_sel_hi:[0,0]
	v_accvgpr_write_b32 a67, v1
	v_pk_fma_f32 v[0:1], v[162:163], s[16:17], v[42:43] op_sel_hi:[1,0,1]
	v_pk_fma_f32 v[212:213], v[162:163], s[16:17], v[42:43] op_sel_hi:[1,0,1] neg_lo:[0,0,1] neg_hi:[0,0,1]
	v_mov_b32_e32 v42, v0
	v_mov_b32_e32 v43, v213
	v_pk_add_f32 v[40:41], v[42:43], v[40:41]
	v_pk_mul_f32 v[42:43], v[180:181], s[36:37] op_sel:[1,0] op_sel_hi:[0,0]
	v_accvgpr_write_b32 a69, v1
	v_pk_fma_f32 v[0:1], v[164:165], s[18:19], v[42:43] op_sel_hi:[1,0,1]
	v_pk_fma_f32 v[216:217], v[164:165], s[18:19], v[42:43] op_sel_hi:[1,0,1] neg_lo:[0,0,1] neg_hi:[0,0,1]
	v_mov_b32_e32 v42, v0
	v_mov_b32_e32 v43, v217
	v_pk_add_f32 v[2:3], v[42:43], v[40:41]
	v_mov_b64_e32 v[42:43], v[96:97]
	v_pk_mul_f32 v[40:41], v[42:43], s[30:31] op_sel:[1,0] op_sel_hi:[0,0]
	v_accvgpr_write_b32 a71, v1
	v_pk_fma_f32 v[0:1], v[50:51], s[16:17], v[40:41] op_sel_hi:[1,0,1]
	v_pk_fma_f32 v[220:221], v[50:51], s[16:17], v[40:41] op_sel_hi:[1,0,1] neg_lo:[0,0,1] neg_hi:[0,0,1]
	v_pk_mul_f32 v[100:101], v[114:115], s[40:41] op_sel:[1,0] op_sel_hi:[0,0]
	v_accvgpr_write_b32 a73, v1
	v_mov_b32_e32 v40, v0
	v_mov_b32_e32 v41, v221
	v_pk_fma_f32 v[0:1], v[98:99], s[24:25], v[100:101] op_sel_hi:[1,0,1]
	v_pk_fma_f32 v[224:225], v[98:99], s[24:25], v[100:101] op_sel_hi:[1,0,1] neg_lo:[0,0,1] neg_hi:[0,0,1]
	v_pk_add_f32 v[40:41], v[44:45], v[40:41]
	v_mov_b32_e32 v100, v0
	v_mov_b32_e32 v101, v225
	v_pk_add_f32 v[40:41], v[100:101], v[40:41]
	v_pk_mul_f32 v[100:101], v[116:117], s[38:39] op_sel:[1,0] op_sel_hi:[0,0]
	v_accvgpr_write_b32 a75, v1
	v_pk_fma_f32 v[0:1], v[104:105], s[28:29], v[100:101] op_sel_hi:[1,0,1]
	v_pk_fma_f32 v[228:229], v[104:105], s[28:29], v[100:101] op_sel_hi:[1,0,1] neg_lo:[0,0,1] neg_hi:[0,0,1]
	v_mov_b32_e32 v100, v0
	v_mov_b32_e32 v101, v229
	v_pk_add_f32 v[40:41], v[100:101], v[40:41]
	v_pk_mul_f32 v[100:101], v[170:171], s[22:23] op_sel:[1,0] op_sel_hi:[0,0]
	v_accvgpr_write_b32 a77, v1
	v_pk_fma_f32 v[0:1], v[162:163], s[18:19], v[100:101] op_sel_hi:[1,0,1]
	v_pk_fma_f32 v[232:233], v[162:163], s[18:19], v[100:101] op_sel_hi:[1,0,1] neg_lo:[0,0,1] neg_hi:[0,0,1]
	;; [unrolled: 7-line block ×3, first 2 shown]
	v_mov_b32_e32 v100, v0
	v_mov_b32_e32 v101, v241
	v_accvgpr_write_b32 a81, v1
	v_pk_add_f32 v[0:1], v[100:101], v[40:41]
	v_pk_mul_f32 v[100:101], v[180:181], s[38:39] op_sel:[1,0] op_sel_hi:[0,0]
	v_accvgpr_write_b32 a51, v3
	v_accvgpr_write_b32 a50, v2
	;; [unrolled: 1-line block ×4, first 2 shown]
	v_pk_fma_f32 v[2:3], v[164:165], s[28:29], v[100:101] op_sel_hi:[1,0,1]
	v_pk_fma_f32 v[236:237], v[164:165], s[28:29], v[100:101] op_sel_hi:[1,0,1] neg_lo:[0,0,1] neg_hi:[0,0,1]
	v_mov_b32_e32 v100, v2
	v_mov_b32_e32 v101, v237
	v_pk_add_f32 v[46:47], v[100:101], v[46:47]
	v_pk_mul_f32 v[100:101], v[64:65], v[68:69] op_sel_hi:[1,0]
	s_mov_b32 s19, s22
	v_pk_fma_f32 v[106:107], v[64:65], v[22:23], v[100:101] op_sel:[0,0,1] op_sel_hi:[1,1,0] neg_lo:[0,0,1] neg_hi:[0,0,1]
	v_pk_fma_f32 v[64:65], v[64:65], v[22:23], v[100:101] op_sel:[0,0,1] op_sel_hi:[1,0,0]
	s_mov_b32 s23, s18
	v_mov_b32_e32 v107, v65
	v_pk_mul_f32 v[64:65], v[66:67], v[32:33] op_sel:[0,1]
	s_mov_b32 s29, s34
	v_pk_fma_f32 v[100:101], v[66:67], v[32:33], v[64:65] op_sel:[0,0,1] op_sel_hi:[1,1,0] neg_lo:[0,0,1] neg_hi:[0,0,1]
	v_pk_fma_f32 v[64:65], v[66:67], v[32:33], v[64:65] op_sel:[0,0,1] op_sel_hi:[1,0,0]
	s_mov_b32 s35, s28
	v_mov_b32_e32 v64, v35
	v_mov_b32_e32 v101, v65
	v_pk_mul_f32 v[64:65], v[60:61], v[64:65] op_sel_hi:[1,0]
	s_mov_b32 s17, s30
	v_pk_fma_f32 v[66:67], v[60:61], v[34:35], v[64:65] op_sel:[0,0,1] op_sel_hi:[1,1,0] neg_lo:[0,0,1] neg_hi:[0,0,1]
	v_pk_fma_f32 v[60:61], v[60:61], v[34:35], v[64:65] op_sel:[0,0,1] op_sel_hi:[1,0,0]
	s_mov_b32 s31, s16
	v_mov_b32_e32 v67, v61
	v_pk_mul_f32 v[60:61], v[62:63], v[28:29] op_sel:[0,1]
	s_mov_b32 s3, s14
	v_pk_fma_f32 v[64:65], v[62:63], v[28:29], v[60:61] op_sel:[0,0,1] op_sel_hi:[1,1,0] neg_lo:[0,0,1] neg_hi:[0,0,1]
	v_pk_fma_f32 v[60:61], v[62:63], v[28:29], v[60:61] op_sel:[0,0,1] op_sel_hi:[1,0,0]
	s_mov_b32 s15, s2
	v_mov_b32_e32 v60, v31
	v_mov_b32_e32 v65, v61
	v_pk_mul_f32 v[60:61], v[56:57], v[60:61] op_sel_hi:[1,0]
	s_mov_b32 s25, s26
	v_pk_fma_f32 v[62:63], v[56:57], v[30:31], v[60:61] op_sel:[0,0,1] op_sel_hi:[1,1,0] neg_lo:[0,0,1] neg_hi:[0,0,1]
	v_pk_fma_f32 v[56:57], v[56:57], v[30:31], v[60:61] op_sel:[0,0,1] op_sel_hi:[1,0,0]
	s_mov_b32 s27, s24
	v_mov_b32_e32 v63, v57
	v_pk_mul_f32 v[56:57], v[58:59], v[24:25] op_sel:[0,1]
	v_pk_add_f32 v[176:177], v[64:65], v[62:63]
	v_pk_fma_f32 v[60:61], v[58:59], v[24:25], v[56:57] op_sel:[0,0,1] op_sel_hi:[1,1,0] neg_lo:[0,0,1] neg_hi:[0,0,1]
	v_pk_fma_f32 v[56:57], v[58:59], v[24:25], v[56:57] op_sel:[0,0,1] op_sel_hi:[1,0,0]
	v_pk_add_f32 v[166:167], v[64:65], v[62:63] neg_lo:[0,1] neg_hi:[0,1]
	v_mov_b32_e32 v56, v27
	v_mov_b32_e32 v61, v57
	v_pk_mul_f32 v[56:57], v[52:53], v[56:57] op_sel_hi:[1,0]
	v_pk_add_f32 v[190:191], v[66:67], v[60:61]
	v_pk_fma_f32 v[58:59], v[52:53], v[26:27], v[56:57] op_sel:[0,0,1] op_sel_hi:[1,1,0] neg_lo:[0,0,1] neg_hi:[0,0,1]
	v_pk_fma_f32 v[52:53], v[52:53], v[26:27], v[56:57] op_sel:[0,0,1] op_sel_hi:[1,0,0]
	v_mov_b32_e32 v245, v177
	v_mov_b32_e32 v59, v53
	v_pk_mul_f32 v[52:53], v[54:55], v[36:37] op_sel:[0,1]
	v_pk_add_f32 v[194:195], v[100:101], v[58:59]
	v_pk_fma_f32 v[56:57], v[54:55], v[36:37], v[52:53] op_sel:[0,0,1] op_sel_hi:[1,1,0] neg_lo:[0,0,1] neg_hi:[0,0,1]
	v_pk_fma_f32 v[52:53], v[54:55], v[36:37], v[52:53] op_sel:[0,0,1] op_sel_hi:[1,0,0]
	v_mov_b32_e32 v177, v166
	v_mov_b32_e32 v52, v39
	;; [unrolled: 1-line block ×3, first 2 shown]
	v_pk_mul_f32 v[52:53], v[118:119], v[52:53] op_sel_hi:[1,0]
	v_pk_add_f32 v[210:211], v[106:107], v[56:57]
	v_pk_fma_f32 v[54:55], v[118:119], v[38:39], v[52:53] op_sel:[0,0,1] op_sel_hi:[1,0,0] neg_lo:[0,0,1] neg_hi:[0,0,1]
	v_pk_fma_f32 v[110:111], v[118:119], v[38:39], v[52:53] op_sel:[0,0,1] op_sel_hi:[1,0,0]
	v_mov_b32_e32 v118, v174
	v_mov_b32_e32 v119, v172
	v_pk_add_f32 v[118:119], v[48:49], v[118:119]
	v_mov_b32_e32 v52, v54
	v_pk_add_f32 v[118:119], v[118:119], v[106:107]
	;; [unrolled: 2-line block ×3, first 2 shown]
	v_pk_add_f32 v[198:199], v[174:175], v[54:55]
	v_pk_add_f32 v[118:119], v[118:119], v[66:67]
	v_pk_add_f32 v[54:55], v[174:175], v[54:55] neg_lo:[0,1] neg_hi:[0,1]
	v_pk_add_f32 v[118:119], v[118:119], v[64:65]
	v_mov_b32_e32 v199, v54
	v_pk_add_f32 v[118:119], v[118:119], v[62:63]
	v_pk_add_f32 v[100:101], v[100:101], v[58:59] neg_lo:[0,1] neg_hi:[0,1]
	v_pk_add_f32 v[118:119], v[118:119], v[60:61]
	v_pk_add_f32 v[106:107], v[106:107], v[56:57] neg_lo:[0,1] neg_hi:[0,1]
	v_pk_add_f32 v[118:119], v[118:119], v[58:59]
	v_pk_mul_f32 v[58:59], v[198:199], s[18:19]
	v_pk_add_f32 v[118:119], v[118:119], v[56:57]
	v_mov_b32_e32 v244, v167
	v_pk_add_f32 v[160:161], v[118:119], v[52:53]
	v_mov_b32_e32 v53, v172
	v_pk_add_f32 v[52:53], v[52:53], v[110:111]
	v_pk_mul_f32 v[248:249], v[176:177], s[24:25]
	v_mov_b32_e32 v52, v111
	v_pk_add_f32 v[206:207], v[172:173], v[52:53] neg_lo:[0,1] neg_hi:[0,1]
	v_pk_add_f32 v[110:111], v[66:67], v[60:61] neg_lo:[0,1] neg_hi:[0,1]
	v_mov_b32_e32 v52, v206
	v_pk_fma_f32 v[54:55], v[206:207], s[22:23], v[58:59] neg_lo:[1,0,0] neg_hi:[1,0,0]
	v_pk_fma_f32 v[56:57], v[52:53], s[22:23], v[58:59]
	v_mov_b32_e32 v173, v191
	v_mov_b32_e32 v55, v57
	v_pk_add_f32 v[64:65], v[48:49], v[54:55]
	v_mov_b32_e32 v55, v211
	v_mov_b32_e32 v211, v106
	;; [unrolled: 1-line block ×3, first 2 shown]
	v_pk_mul_f32 v[62:63], v[210:211], s[28:29]
	v_mov_b32_e32 v191, v110
	v_pk_fma_f32 v[66:67], v[54:55], s[34:35], v[62:63] neg_lo:[1,0,0] neg_hi:[1,0,0]
	v_pk_fma_f32 v[60:61], v[54:55], s[34:35], v[62:63]
	v_mov_b32_e32 v172, v111
	v_mov_b32_e32 v67, v61
	v_pk_add_f32 v[106:107], v[66:67], v[64:65]
	v_mov_b32_e32 v65, v195
	v_mov_b32_e32 v195, v100
	;; [unrolled: 1-line block ×3, first 2 shown]
	v_pk_mul_f32 v[118:119], v[194:195], s[16:17]
	v_pk_mul_f32 v[242:243], v[190:191], s[2:3]
	v_pk_fma_f32 v[100:101], v[64:65], s[30:31], v[118:119] neg_lo:[1,0,0] neg_hi:[1,0,0]
	v_pk_fma_f32 v[66:67], v[64:65], s[30:31], v[118:119]
	v_pk_fma_f32 v[174:175], v[172:173], s[14:15], v[242:243]
	v_mov_b32_e32 v101, v67
	v_pk_add_f32 v[100:101], v[100:101], v[106:107]
	v_pk_fma_f32 v[106:107], v[172:173], s[14:15], v[242:243] neg_lo:[1,0,0] neg_hi:[1,0,0]
	v_mul_u32_u24_e32 v0, 0x42, v81
	v_mov_b32_e32 v107, v175
	v_pk_add_f32 v[100:101], v[106:107], v[100:101]
	v_pk_fma_f32 v[106:107], v[244:245], s[26:27], v[248:249] neg_lo:[1,0,0] neg_hi:[1,0,0]
	v_pk_fma_f32 v[246:247], v[244:245], s[26:27], v[248:249]
	v_add_u32_sdwa v0, v0, v91 dst_sel:DWORD dst_unused:UNUSED_PAD src0_sel:DWORD src1_sel:BYTE_0
	v_mov_b32_e32 v107, v247
	v_lshl_add_u32 v0, v0, 3, v90
	v_pk_add_f32 v[100:101], v[106:107], v[100:101]
	v_pk_mul_f32 v[254:255], v[198:199], s[28:29]
	ds_write2_b64 v0, v[160:161], v[100:101] offset1:6
	v_pk_fma_f32 v[100:101], v[206:207], s[34:35], v[254:255] neg_lo:[1,0,0] neg_hi:[1,0,0]
	v_pk_fma_f32 v[252:253], v[52:53], s[34:35], v[254:255]
	s_mov_b32 s41, s24
	v_mov_b32_e32 v101, v253
	v_pk_add_f32 v[106:107], v[48:49], v[100:101]
	v_pk_mul_f32 v[100:101], v[210:211], s[2:3]
	s_mov_b32 s21, s16
	v_pk_fma_f32 v[110:111], v[54:55], s[14:15], v[100:101] neg_lo:[1,0,0] neg_hi:[1,0,0]
	v_pk_fma_f32 v[250:251], v[54:55], s[14:15], v[100:101]
	s_mov_b32 s37, s18
	v_mov_b32_e32 v111, v251
	v_pk_add_f32 v[160:161], v[110:111], v[106:107]
	v_pk_mul_f32 v[110:111], v[194:195], s[42:43]
	v_pk_mul_f32 v[226:227], v[210:211], s[42:43]
	v_pk_fma_f32 v[166:167], v[64:65], s[40:41], v[110:111] neg_lo:[1,0,0] neg_hi:[1,0,0]
	v_pk_fma_f32 v[106:107], v[64:65], s[40:41], v[110:111]
	v_pk_fma_f32 v[230:231], v[54:55], s[40:41], v[226:227] neg_lo:[1,0,0] neg_hi:[1,0,0]
	v_mov_b32_e32 v167, v107
	v_pk_add_f32 v[182:183], v[166:167], v[160:161]
	v_pk_mul_f32 v[160:161], v[190:191], s[44:45]
	v_pk_fma_f32 v[234:235], v[54:55], s[40:41], v[226:227]
	v_pk_fma_f32 v[186:187], v[172:173], s[20:21], v[160:161] neg_lo:[1,0,0] neg_hi:[1,0,0]
	v_pk_fma_f32 v[166:167], v[172:173], s[20:21], v[160:161]
	v_mov_b32_e32 v231, v235
	v_mov_b32_e32 v187, v167
	v_pk_add_f32 v[214:215], v[186:187], v[182:183]
	v_pk_mul_f32 v[186:187], v[176:177], s[46:47]
	s_mov_b32 s29, s38
	v_pk_fma_f32 v[182:183], v[244:245], s[36:37], v[186:187] neg_lo:[1,0,0] neg_hi:[1,0,0]
	v_pk_fma_f32 v[202:203], v[244:245], s[36:37], v[186:187]
	s_mov_b32 s39, s28
	v_mov_b32_e32 v183, v203
	v_pk_add_f32 v[182:183], v[182:183], v[214:215]
	v_pk_mul_f32 v[214:215], v[198:199], s[16:17]
	v_pk_mul_f32 v[136:137], v[210:211], s[44:45]
	v_pk_fma_f32 v[218:219], v[206:207], s[30:31], v[214:215] neg_lo:[1,0,0] neg_hi:[1,0,0]
	v_pk_fma_f32 v[222:223], v[52:53], s[30:31], v[214:215]
	v_pk_fma_f32 v[138:139], v[54:55], s[20:21], v[136:137] neg_lo:[1,0,0] neg_hi:[1,0,0]
	v_mov_b32_e32 v219, v223
	v_pk_add_f32 v[218:219], v[48:49], v[218:219]
	v_pk_fma_f32 v[140:141], v[54:55], s[20:21], v[136:137]
	v_pk_add_f32 v[218:219], v[230:231], v[218:219]
	v_pk_mul_f32 v[230:231], v[194:195], s[28:29]
	v_mov_b32_e32 v139, v141
	v_pk_fma_f32 v[238:239], v[64:65], s[38:39], v[230:231] neg_lo:[1,0,0] neg_hi:[1,0,0]
	v_pk_fma_f32 v[122:123], v[64:65], s[38:39], v[230:231]
	v_pk_mul_f32 v[210:211], v[210:211], s[46:47]
	v_mov_b32_e32 v239, v123
	v_pk_add_f32 v[218:219], v[238:239], v[218:219]
	v_pk_mul_f32 v[238:239], v[190:191], s[18:19]
	v_pk_fma_f32 v[154:155], v[54:55], s[36:37], v[210:211] neg_lo:[1,0,0] neg_hi:[1,0,0]
	v_pk_fma_f32 v[126:127], v[172:173], s[22:23], v[238:239] neg_lo:[1,0,0] neg_hi:[1,0,0]
	v_pk_fma_f32 v[128:129], v[172:173], s[22:23], v[238:239]
	v_pk_fma_f32 v[156:157], v[54:55], s[36:37], v[210:211]
	v_mov_b32_e32 v127, v129
	v_pk_add_f32 v[126:127], v[126:127], v[218:219]
	v_pk_mul_f32 v[218:219], v[176:177], s[2:3]
	v_mov_b32_e32 v155, v157
	v_pk_fma_f32 v[130:131], v[244:245], s[14:15], v[218:219] neg_lo:[1,0,0] neg_hi:[1,0,0]
	v_pk_fma_f32 v[132:133], v[244:245], s[14:15], v[218:219]
	v_pk_fma_f32 v[100:101], v[54:55], s[14:15], v[100:101] neg_lo:[0,0,1] neg_hi:[0,0,1]
	v_mov_b32_e32 v131, v133
	v_pk_add_f32 v[126:127], v[130:131], v[126:127]
	ds_write2_b64 v0, v[182:183], v[126:127] offset0:12 offset1:18
	v_pk_mul_f32 v[126:127], v[198:199], s[2:3]
	v_mov_b32_e32 v251, v101
	v_pk_fma_f32 v[130:131], v[206:207], s[14:15], v[126:127] neg_lo:[1,0,0] neg_hi:[1,0,0]
	v_pk_fma_f32 v[182:183], v[52:53], s[14:15], v[126:127]
	v_pk_fma_f32 v[100:101], v[64:65], s[40:41], v[110:111] neg_lo:[0,0,1] neg_hi:[0,0,1]
	v_mov_b32_e32 v131, v183
	v_pk_add_f32 v[130:131], v[48:49], v[130:131]
	v_mov_b32_e32 v107, v101
	v_pk_add_f32 v[130:131], v[138:139], v[130:131]
	v_pk_mul_f32 v[138:139], v[194:195], s[18:19]
	v_pk_mul_f32 v[194:195], v[194:195], s[2:3]
	v_pk_fma_f32 v[142:143], v[64:65], s[22:23], v[138:139] neg_lo:[1,0,0] neg_hi:[1,0,0]
	v_pk_fma_f32 v[144:145], v[64:65], s[22:23], v[138:139]
	v_pk_fma_f32 v[158:159], v[64:65], s[14:15], v[194:195]
	v_mov_b32_e32 v143, v145
	v_pk_add_f32 v[130:131], v[142:143], v[130:131]
	v_pk_mul_f32 v[142:143], v[190:191], s[24:25]
	v_pk_mul_f32 v[190:191], v[190:191], s[28:29]
	v_pk_fma_f32 v[146:147], v[172:173], s[26:27], v[142:143] neg_lo:[1,0,0] neg_hi:[1,0,0]
	v_pk_fma_f32 v[148:149], v[172:173], s[26:27], v[142:143]
	v_pk_fma_f32 v[90:91], v[172:173], s[38:39], v[190:191]
	;; [unrolled: 7-line block ×3, first 2 shown]
	v_mov_b32_e32 v151, v153
	v_pk_add_f32 v[130:131], v[150:151], v[130:131]
	v_pk_mul_f32 v[150:151], v[198:199], s[24:25]
	v_pk_fma_f32 v[100:101], v[172:173], s[20:21], v[160:161] neg_lo:[0,0,1] neg_hi:[0,0,1]
	v_pk_fma_f32 v[198:199], v[206:207], s[26:27], v[150:151] neg_lo:[1,0,0] neg_hi:[1,0,0]
	v_pk_fma_f32 v[206:207], v[52:53], s[26:27], v[150:151]
	v_mov_b32_e32 v167, v101
	v_mov_b32_e32 v199, v207
	v_pk_add_f32 v[198:199], v[48:49], v[198:199]
	v_pk_fma_f32 v[100:101], v[244:245], s[36:37], v[186:187] neg_lo:[0,0,1] neg_hi:[0,0,1]
	v_pk_add_f32 v[154:155], v[154:155], v[198:199]
	v_pk_fma_f32 v[198:199], v[64:65], s[14:15], v[194:195] neg_lo:[1,0,0] neg_hi:[1,0,0]
	v_mov_b32_e32 v203, v101
	v_mov_b32_e32 v199, v159
	v_pk_add_f32 v[154:155], v[198:199], v[154:155]
	v_pk_fma_f32 v[198:199], v[172:173], s[38:39], v[190:191] neg_lo:[1,0,0] neg_hi:[1,0,0]
	s_nop 0
	v_mov_b32_e32 v199, v91
	v_pk_add_f32 v[154:155], v[198:199], v[154:155]
	v_pk_fma_f32 v[198:199], v[244:245], s[30:31], v[176:177] neg_lo:[1,0,0] neg_hi:[1,0,0]
	s_nop 0
	v_mov_b32_e32 v199, v97
	v_pk_add_f32 v[154:155], v[198:199], v[154:155]
	ds_write2_b64 v0, v[130:131], v[154:155] offset0:24 offset1:30
	v_pk_fma_f32 v[130:131], v[52:53], s[26:27], v[150:151] neg_lo:[0,0,1] neg_hi:[0,0,1]
	v_pk_fma_f32 v[150:151], v[54:55], s[36:37], v[210:211] neg_lo:[0,0,1] neg_hi:[0,0,1]
	v_mov_b32_e32 v207, v131
	v_pk_add_f32 v[130:131], v[48:49], v[206:207]
	v_mov_b32_e32 v157, v151
	v_pk_fma_f32 v[150:151], v[64:65], s[14:15], v[194:195] neg_lo:[0,0,1] neg_hi:[0,0,1]
	v_pk_add_f32 v[130:131], v[156:157], v[130:131]
	v_mov_b32_e32 v159, v151
	v_pk_fma_f32 v[150:151], v[172:173], s[38:39], v[190:191] neg_lo:[0,0,1] neg_hi:[0,0,1]
	v_pk_add_f32 v[130:131], v[158:159], v[130:131]
	v_mov_b32_e32 v91, v151
	v_pk_add_f32 v[90:91], v[90:91], v[130:131]
	v_pk_fma_f32 v[130:131], v[244:245], s[30:31], v[176:177] neg_lo:[0,0,1] neg_hi:[0,0,1]
	v_mov_b32_e32 v158, v0
	v_mov_b32_e32 v97, v131
	v_pk_add_f32 v[90:91], v[96:97], v[90:91]
	v_pk_fma_f32 v[96:97], v[52:53], s[14:15], v[126:127] neg_lo:[0,0,1] neg_hi:[0,0,1]
	v_pk_fma_f32 v[126:127], v[54:55], s[20:21], v[136:137] neg_lo:[0,0,1] neg_hi:[0,0,1]
	v_mov_b32_e32 v183, v97
	v_pk_add_f32 v[96:97], v[48:49], v[182:183]
	v_mov_b32_e32 v141, v127
	v_pk_fma_f32 v[126:127], v[64:65], s[22:23], v[138:139] neg_lo:[0,0,1] neg_hi:[0,0,1]
	v_pk_add_f32 v[96:97], v[140:141], v[96:97]
	v_mov_b32_e32 v145, v127
	v_pk_fma_f32 v[126:127], v[172:173], s[26:27], v[142:143] neg_lo:[0,0,1] neg_hi:[0,0,1]
	;; [unrolled: 3-line block ×3, first 2 shown]
	v_pk_add_f32 v[96:97], v[148:149], v[96:97]
	v_mov_b32_e32 v153, v127
	v_pk_add_f32 v[96:97], v[152:153], v[96:97]
	ds_write2_b64 v0, v[90:91], v[96:97] offset0:36 offset1:42
	v_pk_fma_f32 v[96:97], v[54:55], s[40:41], v[226:227] neg_lo:[0,0,1] neg_hi:[0,0,1]
	v_pk_fma_f32 v[90:91], v[52:53], s[30:31], v[214:215] neg_lo:[0,0,1] neg_hi:[0,0,1]
	v_mov_b32_e32 v235, v97
	v_pk_fma_f32 v[96:97], v[64:65], s[38:39], v[230:231] neg_lo:[0,0,1] neg_hi:[0,0,1]
	v_mov_b32_e32 v223, v91
	v_mov_b32_e32 v123, v97
	v_pk_fma_f32 v[96:97], v[172:173], s[22:23], v[238:239] neg_lo:[0,0,1] neg_hi:[0,0,1]
	v_pk_add_f32 v[90:91], v[48:49], v[222:223]
	v_mov_b32_e32 v129, v97
	v_pk_fma_f32 v[96:97], v[244:245], s[14:15], v[218:219] neg_lo:[0,0,1] neg_hi:[0,0,1]
	v_pk_add_f32 v[90:91], v[234:235], v[90:91]
	v_mov_b32_e32 v133, v97
	v_pk_fma_f32 v[96:97], v[52:53], s[34:35], v[254:255] neg_lo:[0,0,1] neg_hi:[0,0,1]
	v_pk_fma_f32 v[52:53], v[52:53], s[22:23], v[58:59] neg_lo:[0,0,1] neg_hi:[0,0,1]
	v_mov_b32_e32 v253, v97
	v_mov_b32_e32 v57, v53
	v_pk_fma_f32 v[52:53], v[54:55], s[34:35], v[62:63] neg_lo:[0,0,1] neg_hi:[0,0,1]
	v_pk_add_f32 v[96:97], v[48:49], v[252:253]
	v_pk_add_f32 v[48:49], v[48:49], v[56:57]
	v_mov_b32_e32 v61, v53
	v_pk_fma_f32 v[52:53], v[64:65], s[30:31], v[118:119] neg_lo:[0,0,1] neg_hi:[0,0,1]
	v_pk_add_f32 v[96:97], v[250:251], v[96:97]
	v_pk_add_f32 v[48:49], v[60:61], v[48:49]
	;; [unrolled: 4-line block ×3, first 2 shown]
	v_pk_add_f32 v[48:49], v[66:67], v[48:49]
	v_mov_b32_e32 v175, v53
	v_pk_fma_f32 v[52:53], v[244:245], s[26:27], v[248:249] neg_lo:[0,0,1] neg_hi:[0,0,1]
	v_pk_add_f32 v[90:91], v[128:129], v[90:91]
	v_pk_add_f32 v[96:97], v[166:167], v[96:97]
	;; [unrolled: 1-line block ×3, first 2 shown]
	v_mov_b32_e32 v247, v53
	v_pk_add_f32 v[90:91], v[132:133], v[90:91]
	v_pk_add_f32 v[96:97], v[202:203], v[96:97]
	;; [unrolled: 1-line block ×3, first 2 shown]
	ds_write2_b64 v0, v[90:91], v[96:97] offset0:48 offset1:54
	ds_write_b64 v0, v[48:49] offset:480
	s_and_saveexec_b64 s[20:21], vcc
	s_cbranch_execz .LBB0_7
; %bb.6:
	v_pk_add_f32 v[60:61], v[44:45], v[72:73]
	v_mov_b32_e32 v179, v103
	v_pk_add_f32 v[60:61], v[60:61], v[82:83]
	v_pk_add_f32 v[62:63], v[44:45], v[178:179]
	;; [unrolled: 1-line block ×3, first 2 shown]
	v_mov_b32_e32 v185, v109
	v_pk_add_f32 v[60:61], v[60:61], v[70:71]
	v_accvgpr_read_b32 v0, a39
	v_pk_add_f32 v[60:61], v[60:61], v[86:87]
	v_pk_add_f32 v[62:63], v[184:185], v[62:63]
	;; [unrolled: 1-line block ×3, first 2 shown]
	v_mov_b32_e32 v189, v113
	v_pk_add_f32 v[60:61], v[60:61], v[92:93]
	v_mul_u32_u24_e32 v0, 0x42, v0
	v_accvgpr_read_b32 v1, a44
	v_pk_add_f32 v[60:61], v[60:61], v[94:95]
	v_pk_add_f32 v[62:63], v[188:189], v[62:63]
	v_mov_b32_e32 v193, v169
	v_add_u32_sdwa v0, v0, v1 dst_sel:DWORD dst_unused:UNUSED_PAD src0_sel:DWORD src1_sel:BYTE_0
	v_pk_add_f32 v[60:61], v[60:61], v[76:77]
	v_pk_add_f32 v[62:63], v[192:193], v[62:63]
	v_accvgpr_read_b32 v197, a61
	v_lshl_add_u32 v0, v0, 3, v120
	v_pk_add_f32 v[60:61], v[60:61], v[78:79]
	v_pk_add_f32 v[62:63], v[196:197], v[62:63]
	v_accvgpr_read_b32 v201, a63
	v_accvgpr_read_b32 v221, a73
	ds_write2_b64 v0, v[60:61], v[62:63] offset1:6
	v_pk_add_f32 v[60:61], v[44:45], v[200:201]
	v_accvgpr_read_b32 v205, a65
	v_pk_add_f32 v[62:63], v[44:45], v[220:221]
	v_accvgpr_read_b32 v225, a75
	;; [unrolled: 2-line block ×6, first 2 shown]
	v_mov_b32_e32 v48, v43
	v_mov_b32_e32 v49, v42
	v_pk_add_f32 v[60:61], v[212:213], v[60:61]
	v_accvgpr_read_b32 v217, a71
	v_pk_add_f32 v[62:63], v[232:233], v[62:63]
	v_accvgpr_read_b32 v241, a81
	v_mov_b32_e32 v52, v115
	v_mov_b32_e32 v53, v114
	v_pk_add_f32 v[60:61], v[216:217], v[60:61]
	v_pk_add_f32 v[62:63], v[240:241], v[62:63]
	v_pk_mul_f32 v[48:49], v[48:49], s[26:27] op_sel_hi:[1,0]
	ds_write2_b64 v0, v[60:61], v[62:63] offset0:12 offset1:18
	v_pk_fma_f32 v[62:63], v[50:51], s[24:25], v[48:49] op_sel_hi:[1,0,1] neg_lo:[0,0,1] neg_hi:[0,0,1]
	v_pk_fma_f32 v[48:49], v[50:51], s[24:25], v[48:49] op_sel_hi:[1,0,1]
	v_pk_mul_f32 v[52:53], v[52:53], s[36:37] op_sel_hi:[1,0]
	v_mov_b32_e32 v54, v117
	v_mov_b32_e32 v55, v116
	;; [unrolled: 1-line block ×4, first 2 shown]
	v_pk_fma_f32 v[64:65], v[98:99], s[18:19], v[52:53] op_sel_hi:[1,0,1] neg_lo:[0,0,1] neg_hi:[0,0,1]
	v_pk_fma_f32 v[52:53], v[98:99], s[18:19], v[52:53] op_sel_hi:[1,0,1]
	v_pk_add_f32 v[50:51], v[44:45], v[50:51]
	v_mov_b32_e32 v66, v64
	v_mov_b32_e32 v67, v53
	v_pk_mul_f32 v[54:55], v[54:55], s[14:15] op_sel_hi:[1,0]
	v_mov_b32_e32 v56, v171
	v_mov_b32_e32 v57, v170
	v_pk_add_f32 v[50:51], v[66:67], v[50:51]
	v_pk_fma_f32 v[66:67], v[104:105], s[2:3], v[54:55] op_sel_hi:[1,0,1] neg_lo:[0,0,1] neg_hi:[0,0,1]
	v_pk_fma_f32 v[54:55], v[104:105], s[2:3], v[54:55] op_sel_hi:[1,0,1]
	v_accvgpr_read_b32 v103, a53
	v_mov_b32_e32 v70, v66
	v_mov_b32_e32 v71, v55
	v_pk_mul_f32 v[56:57], v[56:57], s[38:39] op_sel_hi:[1,0]
	v_mov_b32_e32 v49, v63
	v_mov_b32_e32 v58, v181
	;; [unrolled: 1-line block ×3, first 2 shown]
	v_pk_add_f32 v[60:61], v[44:45], v[102:103]
	v_accvgpr_read_b32 v109, a55
	v_pk_add_f32 v[50:51], v[70:71], v[50:51]
	v_pk_fma_f32 v[70:71], v[162:163], s[28:29], v[56:57] op_sel_hi:[1,0,1] neg_lo:[0,0,1] neg_hi:[0,0,1]
	v_pk_fma_f32 v[56:57], v[162:163], s[28:29], v[56:57] op_sel_hi:[1,0,1]
	v_pk_add_f32 v[44:45], v[44:45], v[48:49]
	v_mov_b32_e32 v53, v65
	v_pk_add_f32 v[60:61], v[108:109], v[60:61]
	v_accvgpr_read_b32 v113, a57
	v_mov_b32_e32 v72, v70
	v_mov_b32_e32 v73, v57
	v_pk_mul_f32 v[58:59], v[58:59], s[30:31] op_sel_hi:[1,0]
	v_pk_add_f32 v[44:45], v[52:53], v[44:45]
	v_mov_b32_e32 v55, v67
	v_pk_add_f32 v[60:61], v[112:113], v[60:61]
	v_accvgpr_read_b32 v169, a59
	v_pk_add_f32 v[50:51], v[72:73], v[50:51]
	v_pk_fma_f32 v[72:73], v[164:165], s[16:17], v[58:59] op_sel_hi:[1,0,1] neg_lo:[0,0,1] neg_hi:[0,0,1]
	v_pk_fma_f32 v[58:59], v[164:165], s[16:17], v[58:59] op_sel_hi:[1,0,1]
	v_pk_add_f32 v[44:45], v[54:55], v[44:45]
	v_mov_b32_e32 v57, v71
	v_pk_add_f32 v[60:61], v[168:169], v[60:61]
	v_mov_b32_e32 v237, v3
	v_mov_b32_e32 v74, v72
	;; [unrolled: 1-line block ×3, first 2 shown]
	v_pk_add_f32 v[44:45], v[56:57], v[44:45]
	v_mov_b32_e32 v59, v73
	v_accvgpr_read_b32 v40, a48
	v_pk_add_f32 v[60:61], v[236:237], v[60:61]
	v_pk_add_f32 v[50:51], v[74:75], v[50:51]
	;; [unrolled: 1-line block ×3, first 2 shown]
	v_accvgpr_read_b32 v41, a49
	v_accvgpr_read_b32 v42, a50
	;; [unrolled: 1-line block ×3, first 2 shown]
	ds_write2_b64 v0, v[60:61], v[50:51] offset0:24 offset1:30
	ds_write2_b64 v0, v[44:45], v[46:47] offset0:36 offset1:42
	ds_write2_b64 v0, v[40:41], v[42:43] offset0:48 offset1:54
	ds_write_b64 v0, a[46:47] offset:480
.LBB0_7:
	s_or_b64 exec, exec, s[20:21]
	v_accvgpr_read_b32 v91, a5
	v_accvgpr_read_b32 v90, a4
	v_add_u32_e32 v0, 0x18c, v90
	s_mov_b32 s14, 0xf83f
	v_mul_u32_u24_sdwa v3, v0, s14 dst_sel:DWORD dst_unused:UNUSED_PAD src0_sel:WORD_0 src1_sel:DWORD
	v_lshrrev_b32_e32 v3, 22, v3
	v_add_u32_e32 v1, 0x1ce, v90
	v_mul_lo_u16_e32 v3, 0x42, v3
	v_sub_u16_e32 v0, v0, v3
	v_mul_u32_u24_sdwa v3, v1, s14 dst_sel:DWORD dst_unused:UNUSED_PAD src0_sel:WORD_0 src1_sel:DWORD
	v_lshrrev_b32_e32 v3, 22, v3
	v_add_u32_e32 v2, 0x210, v90
	v_lshlrev_b32_e32 v68, 3, v90
	v_mul_lo_u16_e32 v3, 0x42, v3
	s_waitcnt lgkmcnt(0)
	s_barrier
	global_load_dwordx2 v[174:175], v68, s[10:11] offset:480
	v_sub_u16_e32 v1, v1, v3
	v_mul_u32_u24_sdwa v3, v2, s14 dst_sel:DWORD dst_unused:UNUSED_PAD src0_sel:WORD_0 src1_sel:DWORD
	v_lshrrev_b32_e32 v3, 22, v3
	v_mul_lo_u16_e32 v3, 0x42, v3
	v_sub_u16_e32 v2, v2, v3
	v_lshlrev_b32_e32 v2, 3, v2
	v_lshlrev_b32_e32 v0, 3, v0
	;; [unrolled: 1-line block ×3, first 2 shown]
	global_load_dwordx2 v[176:177], v2, s[10:11] offset:480
	global_load_dwordx2 v[166:167], v0, s[10:11] offset:480
	;; [unrolled: 1-line block ×3, first 2 shown]
	s_mov_b64 s[2:3], 0x108
	v_lshl_add_u64 v[66:67], v[90:91], 0, s[2:3]
	s_mov_b64 s[2:3], 0x14a
	v_lshl_add_u64 v[64:65], v[90:91], 0, s[2:3]
	v_mul_u32_u24_sdwa v3, v66, s14 dst_sel:DWORD dst_unused:UNUSED_PAD src0_sel:WORD_0 src1_sel:DWORD
	v_lshrrev_b32_e32 v40, 22, v3
	v_mul_u32_u24_sdwa v41, v64, s14 dst_sel:DWORD dst_unused:UNUSED_PAD src0_sel:WORD_0 src1_sel:DWORD
	v_mul_lo_u16_e32 v40, 0x42, v40
	v_lshrrev_b32_e32 v42, 22, v41
	v_sub_u16_e32 v40, v66, v40
	v_mul_lo_u16_e32 v42, 0x42, v42
	v_lshlrev_b32_e32 v40, 3, v40
	v_sub_u16_e32 v42, v64, v42
	s_mov_b64 s[2:3], 0xc6
	v_lshlrev_b32_e32 v42, 3, v42
	global_load_dwordx2 v[162:163], v40, s[10:11] offset:480
	global_load_dwordx2 v[170:171], v42, s[10:11] offset:480
	v_lshl_add_u64 v[70:71], v[90:91], 0, s[2:3]
	v_mul_u32_u24_sdwa v43, v70, s14 dst_sel:DWORD dst_unused:UNUSED_PAD src0_sel:WORD_0 src1_sel:DWORD
	v_lshrrev_b32_e32 v43, 22, v43
	s_movk_i32 s2, 0xf9
	v_accvgpr_read_b32 v138, a52
	v_mul_lo_u16_e32 v43, 0x42, v43
	v_mul_lo_u16_sdwa v44, v138, s2 dst_sel:DWORD dst_unused:UNUSED_PAD src0_sel:BYTE_0 src1_sel:DWORD
	v_sub_u16_e32 v43, v70, v43
	v_lshrrev_b16_e32 v44, 14, v44
	v_lshlrev_b32_e32 v43, 3, v43
	v_mul_lo_u16_e32 v44, 0x42, v44
	global_load_dwordx2 v[164:165], v43, s[10:11] offset:480
	v_sub_u16_e32 v44, v138, v44
	v_mov_b32_e32 v45, 3
	v_lshlrev_b32_sdwa v44, v45, v44 dst_sel:DWORD dst_unused:UNUSED_PAD src0_sel:DWORD src1_sel:BYTE_0
	global_load_dwordx2 v[168:169], v44, s[10:11] offset:480
	v_add_u32_e32 v96, 0x1000, v135
	ds_read2_b64 v[48:51], v135 offset1:66
	v_add_u32_e32 v92, 0x2000, v135
	ds_read2_b64 v[52:55], v96 offset0:16 offset1:82
	ds_read2_b64 v[56:59], v96 offset0:148 offset1:214
	;; [unrolled: 1-line block ×3, first 2 shown]
	v_add_u32_e32 v71, v120, v44
	v_add_u32_e32 v97, 0x1800, v135
	;; [unrolled: 1-line block ×10, first 2 shown]
	v_accvgpr_write_b32 a5, v1
	v_accvgpr_write_b32 a54, v2
	;; [unrolled: 1-line block ×6, first 2 shown]
	v_lshl_add_u32 v255, v125, 3, v88
	s_movk_i32 s2, 0x2000
	v_accvgpr_write_b32 a57, v43
	s_waitcnt vmcnt(7) lgkmcnt(2)
	v_pk_mul_f32 v[44:45], v[54:55], v[174:175] op_sel:[0,1]
	s_waitcnt lgkmcnt(1)
	v_pk_mul_f32 v[72:73], v[56:57], v[174:175] op_sel:[0,1]
	v_pk_fma_f32 v[74:75], v[54:55], v[174:175], v[44:45] op_sel:[0,0,1] op_sel_hi:[1,1,0] neg_lo:[0,0,1] neg_hi:[0,0,1]
	v_pk_fma_f32 v[44:45], v[54:55], v[174:175], v[44:45] op_sel:[0,0,1] op_sel_hi:[1,0,0]
	v_pk_fma_f32 v[54:55], v[56:57], v[174:175], v[72:73] op_sel:[0,0,1] op_sel_hi:[1,1,0] neg_lo:[0,0,1] neg_hi:[0,0,1]
	v_pk_fma_f32 v[56:57], v[56:57], v[174:175], v[72:73] op_sel:[0,0,1] op_sel_hi:[1,0,0]
	v_mov_b32_e32 v75, v45
	v_mov_b32_e32 v55, v57
	v_pk_add_f32 v[82:83], v[50:51], v[54:55] neg_lo:[0,1] neg_hi:[0,1]
	s_waitcnt vmcnt(6) lgkmcnt(0)
	v_pk_mul_f32 v[54:55], v[62:63], v[176:177] op_sel:[0,1]
	v_pk_add_f32 v[44:45], v[48:49], v[74:75] neg_lo:[0,1] neg_hi:[0,1]
	v_pk_fma_f32 v[56:57], v[62:63], v[176:177], v[54:55] op_sel:[0,0,1] op_sel_hi:[1,1,0] neg_lo:[0,0,1] neg_hi:[0,0,1]
	v_pk_fma_f32 v[54:55], v[62:63], v[176:177], v[54:55] op_sel:[0,0,1] op_sel_hi:[1,0,0]
	ds_read2_b64 v[72:75], v97 offset0:156 offset1:222
	v_mov_b32_e32 v57, v55
	v_pk_add_f32 v[84:85], v[52:53], v[56:57] neg_lo:[0,1] neg_hi:[0,1]
	ds_read2_b64 v[54:57], v91 offset0:140 offset1:206
	s_waitcnt vmcnt(4)
	v_pk_mul_f32 v[62:63], v[60:61], v[172:173] op_sel:[0,1]
	v_pk_fma_f32 v[48:49], v[48:49], 2.0, v[44:45] op_sel_hi:[1,0,1] neg_lo:[0,0,1] neg_hi:[0,0,1]
	v_pk_fma_f32 v[76:77], v[60:61], v[172:173], v[62:63] op_sel:[0,0,1] op_sel_hi:[1,1,0] neg_lo:[0,0,1] neg_hi:[0,0,1]
	v_pk_fma_f32 v[60:61], v[60:61], v[172:173], v[62:63] op_sel:[0,0,1] op_sel_hi:[1,0,0]
	s_waitcnt vmcnt(2) lgkmcnt(1)
	v_pk_mul_f32 v[78:79], v[72:73], v[170:171] op_sel:[0,1]
	v_mov_b32_e32 v77, v61
	v_pk_mul_f32 v[60:61], v[74:75], v[166:167] op_sel:[0,1]
	s_waitcnt lgkmcnt(0)
	v_pk_add_f32 v[86:87], v[56:57], v[76:77] neg_lo:[0,1] neg_hi:[0,1]
	v_pk_fma_f32 v[62:63], v[74:75], v[166:167], v[60:61] op_sel:[0,0,1] op_sel_hi:[1,1,0] neg_lo:[0,0,1] neg_hi:[0,0,1]
	v_pk_fma_f32 v[60:61], v[74:75], v[166:167], v[60:61] op_sel:[0,0,1] op_sel_hi:[1,0,0]
	ds_read2_b64 v[74:77], v97 offset0:24 offset1:90
	v_mov_b32_e32 v63, v61
	v_pk_add_f32 v[94:95], v[54:55], v[62:63] neg_lo:[0,1] neg_hi:[0,1]
	ds_read2_b64 v[60:63], v91 offset0:8 offset1:74
	v_pk_fma_f32 v[98:99], v[72:73], v[170:171], v[78:79] op_sel:[0,0,1] op_sel_hi:[1,1,0] neg_lo:[0,0,1] neg_hi:[0,0,1]
	v_pk_fma_f32 v[72:73], v[72:73], v[170:171], v[78:79] op_sel:[0,0,1] op_sel_hi:[1,0,0]
	s_waitcnt lgkmcnt(1)
	v_pk_mul_f32 v[78:79], v[76:77], v[162:163] op_sel:[0,1]
	v_mov_b32_e32 v99, v73
	s_waitcnt lgkmcnt(0)
	v_pk_add_f32 v[72:73], v[62:63], v[98:99] neg_lo:[0,1] neg_hi:[0,1]
	v_pk_fma_f32 v[98:99], v[76:77], v[162:163], v[78:79] op_sel:[0,0,1] op_sel_hi:[1,1,0] neg_lo:[0,0,1] neg_hi:[0,0,1]
	v_pk_fma_f32 v[76:77], v[76:77], v[162:163], v[78:79] op_sel:[0,0,1] op_sel_hi:[1,0,0]
	s_waitcnt vmcnt(1)
	v_pk_mul_f32 v[100:101], v[74:75], v[164:165] op_sel:[0,1]
	v_mov_b32_e32 v99, v77
	ds_read2_b64 v[76:79], v135 offset0:132 offset1:198
	v_pk_fma_f32 v[102:103], v[74:75], v[164:165], v[100:101] op_sel:[0,0,1] op_sel_hi:[1,1,0] neg_lo:[0,0,1] neg_hi:[0,0,1]
	v_pk_fma_f32 v[74:75], v[74:75], v[164:165], v[100:101] op_sel:[0,0,1] op_sel_hi:[1,0,0]
	s_waitcnt vmcnt(0)
	v_pk_mul_f32 v[100:101], v[58:59], v[168:169] op_sel:[0,1]
	v_mov_b32_e32 v103, v75
	s_waitcnt lgkmcnt(0)
	v_pk_add_f32 v[74:75], v[78:79], v[102:103] neg_lo:[0,1] neg_hi:[0,1]
	v_pk_fma_f32 v[102:103], v[58:59], v[168:169], v[100:101] op_sel:[0,0,1] op_sel_hi:[1,1,0] neg_lo:[0,0,1] neg_hi:[0,0,1]
	v_pk_fma_f32 v[58:59], v[58:59], v[168:169], v[100:101] op_sel:[0,0,1] op_sel_hi:[1,0,0]
	s_nop 0
	v_mov_b32_e32 v103, v59
	v_pk_add_f32 v[58:59], v[76:77], v[102:103] neg_lo:[0,1] neg_hi:[0,1]
	s_barrier
	v_pk_fma_f32 v[76:77], v[76:77], 2.0, v[58:59] op_sel_hi:[1,0,1] neg_lo:[0,0,1] neg_hi:[0,0,1]
	ds_write2_b64 v135, v[48:49], v[44:45] offset1:66
	v_pk_fma_f32 v[44:45], v[50:51], 2.0, v[82:83] op_sel_hi:[1,0,1] neg_lo:[0,0,1] neg_hi:[0,0,1]
	v_pk_add_f32 v[98:99], v[60:61], v[98:99] neg_lo:[0,1] neg_hi:[0,1]
	ds_write2_b64 v135, v[44:45], v[82:83] offset0:132 offset1:198
	ds_write2_b64 v0, v[76:77], v[58:59] offset0:8 offset1:74
	v_pk_fma_f32 v[44:45], v[78:79], 2.0, v[74:75] op_sel_hi:[1,0,1] neg_lo:[0,0,1] neg_hi:[0,0,1]
	v_add_u32_e32 v0, 0x800, v43
	ds_write2_b64 v0, v[44:45], v[74:75] offset0:140 offset1:206
	v_pk_fma_f32 v[44:45], v[60:61], 2.0, v[98:99] op_sel_hi:[1,0,1] neg_lo:[0,0,1] neg_hi:[0,0,1]
	v_add_u32_e32 v0, 0x1000, v40
	;; [unrolled: 3-line block ×6, first 2 shown]
	ds_write2_b64 v0, v[44:45], v[84:85] offset0:32 offset1:98
	v_lshlrev_b32_e32 v0, 4, v80
	s_waitcnt lgkmcnt(0)
	s_barrier
	global_load_dwordx4 v[52:55], v0, s[10:11] offset:1008
	v_lshlrev_b32_e32 v1, 4, v90
	global_load_dwordx4 v[48:51], v1, s[10:11] offset:1008
	v_lshrrev_b32_e32 v2, 23, v3
	v_mul_lo_u16_e32 v2, 0x84, v2
	v_lshrrev_b32_e32 v3, 23, v41
	v_sub_u16_e32 v2, v66, v2
	v_mul_lo_u16_e32 v3, 0x84, v3
	v_lshl_add_u64 v[44:45], s[8:9], 0, v[68:69]
	v_lshlrev_b16_e32 v68, 4, v2
	v_sub_u16_e32 v3, v64, v3
	v_lshl_add_u64 v[56:57], s[10:11], 0, v[68:69]
	v_lshlrev_b16_e32 v68, 4, v3
	v_lshl_add_u64 v[58:59], s[10:11], 0, v[68:69]
	global_load_dwordx4 v[60:63], v[58:59], off offset:1008
	s_nop 0
	global_load_dwordx4 v[56:59], v[56:57], off offset:1008
	ds_read2_b64 v[72:75], v91 offset0:140 offset1:206
	ds_read2_b64 v[76:79], v135 offset1:66
	ds_read2_b64 v[80:83], v97 offset0:24 offset1:90
	s_mov_b32 s8, 0x3f5db3d7
	s_mov_b32 s9, 0.5
	v_lshl_add_u32 v40, v2, 3, v120
	v_add_u32_e32 v2, 0x1800, v40
	v_lshl_add_u32 v3, v3, 3, v120
	v_accvgpr_write_b32 a59, v40
	v_accvgpr_write_b32 a58, v3
	s_waitcnt vmcnt(3) lgkmcnt(2)
	v_pk_mul_f32 v[68:69], v[74:75], v[52:53] op_sel:[0,1]
	s_nop 0
	v_pk_fma_f32 v[84:85], v[74:75], v[52:53], v[68:69] op_sel:[0,0,1] op_sel_hi:[1,1,0] neg_lo:[0,0,1] neg_hi:[0,0,1]
	v_pk_fma_f32 v[68:69], v[74:75], v[52:53], v[68:69] op_sel:[0,0,1] op_sel_hi:[1,0,0]
	s_waitcnt vmcnt(2)
	v_mov_b32_e32 v90, v51
	v_mov_b32_e32 v68, v55
	s_waitcnt lgkmcnt(0)
	v_pk_mul_f32 v[74:75], v[82:83], v[68:69] op_sel_hi:[1,0]
	v_mov_b32_e32 v85, v69
	v_pk_fma_f32 v[86:87], v[82:83], v[54:55], v[74:75] op_sel:[0,0,1] op_sel_hi:[1,1,0] neg_lo:[0,0,1] neg_hi:[0,0,1]
	v_pk_fma_f32 v[74:75], v[82:83], v[54:55], v[74:75] op_sel:[0,0,1] op_sel_hi:[1,0,0]
	s_nop 0
	v_mov_b32_e32 v87, v75
	v_pk_add_f32 v[74:75], v[84:85], v[86:87]
	v_pk_add_f32 v[82:83], v[84:85], v[86:87] neg_lo:[0,1] neg_hi:[0,1]
	v_pk_fma_f32 v[74:75], v[74:75], 0.5, v[78:79] op_sel_hi:[1,0,1] neg_lo:[1,0,0] neg_hi:[1,0,0]
	v_pk_mul_f32 v[82:83], v[82:83], s[8:9] op_sel_hi:[1,0]
	s_nop 0
	v_pk_add_f32 v[94:95], v[74:75], v[82:83] op_sel:[0,1] op_sel_hi:[1,0]
	v_pk_add_f32 v[98:99], v[74:75], v[82:83] op_sel:[0,1] op_sel_hi:[1,0] neg_lo:[0,1] neg_hi:[0,1]
	v_pk_mul_f32 v[74:75], v[72:73], v[48:49] op_sel:[0,1]
	s_nop 0
	v_pk_fma_f32 v[82:83], v[72:73], v[48:49], v[74:75] op_sel:[0,0,1] op_sel_hi:[1,1,0] neg_lo:[0,0,1] neg_hi:[0,0,1]
	v_pk_fma_f32 v[72:73], v[72:73], v[48:49], v[74:75] op_sel:[0,0,1] op_sel_hi:[1,0,0]
	s_nop 0
	v_mov_b32_e32 v83, v73
	v_pk_mul_f32 v[72:73], v[80:81], v[90:91] op_sel_hi:[1,0]
	s_nop 0
	v_pk_fma_f32 v[74:75], v[80:81], v[50:51], v[72:73] op_sel:[0,0,1] op_sel_hi:[1,1,0] neg_lo:[0,0,1] neg_hi:[0,0,1]
	v_pk_fma_f32 v[72:73], v[80:81], v[50:51], v[72:73] op_sel:[0,0,1] op_sel_hi:[1,0,0]
	s_nop 0
	v_mov_b32_e32 v75, v73
	v_pk_add_f32 v[72:73], v[76:77], v[82:83]
	s_nop 0
	v_pk_add_f32 v[100:101], v[72:73], v[74:75]
	v_pk_add_f32 v[72:73], v[82:83], v[74:75]
	v_pk_add_f32 v[74:75], v[82:83], v[74:75] neg_lo:[0,1] neg_hi:[0,1]
	v_pk_fma_f32 v[72:73], v[72:73], 0.5, v[76:77] op_sel_hi:[1,0,1] neg_lo:[1,0,0] neg_hi:[1,0,0]
	v_pk_mul_f32 v[74:75], v[74:75], s[8:9] op_sel_hi:[1,0]
	s_nop 0
	v_pk_add_f32 v[102:103], v[72:73], v[74:75] op_sel:[0,1] op_sel_hi:[1,0]
	v_pk_add_f32 v[104:105], v[72:73], v[74:75] op_sel:[0,1] op_sel_hi:[1,0] neg_lo:[0,1] neg_hi:[0,1]
	v_pk_add_f32 v[72:73], v[78:79], v[84:85]
	s_nop 0
	v_pk_add_f32 v[106:107], v[72:73], v[86:87]
	ds_read2_b64 v[72:75], v96 offset0:148 offset1:214
	ds_read2_b64 v[76:79], v91 offset0:8 offset1:74
	;; [unrolled: 1-line block ×3, first 2 shown]
	s_waitcnt vmcnt(1) lgkmcnt(2)
	v_pk_mul_f32 v[84:85], v[74:75], v[60:61] op_sel:[0,1]
	s_nop 0
	v_pk_fma_f32 v[108:109], v[74:75], v[60:61], v[84:85] op_sel:[0,0,1] op_sel_hi:[1,1,0] neg_lo:[0,0,1] neg_hi:[0,0,1]
	v_pk_fma_f32 v[74:75], v[74:75], v[60:61], v[84:85] op_sel:[0,0,1] op_sel_hi:[1,0,0]
	s_nop 0
	v_mov_b32_e32 v74, v63
	v_mov_b32_e32 v109, v75
	s_waitcnt lgkmcnt(0)
	v_pk_mul_f32 v[74:75], v[82:83], v[74:75] op_sel_hi:[1,0]
	s_nop 0
	v_pk_fma_f32 v[110:111], v[82:83], v[62:63], v[74:75] op_sel:[0,0,1] op_sel_hi:[1,1,0] neg_lo:[0,0,1] neg_hi:[0,0,1]
	v_pk_fma_f32 v[74:75], v[82:83], v[62:63], v[74:75] op_sel:[0,0,1] op_sel_hi:[1,0,0]
	s_nop 0
	v_mov_b32_e32 v111, v75
	v_pk_add_f32 v[74:75], v[108:109], v[110:111]
	v_pk_add_f32 v[82:83], v[108:109], v[110:111] neg_lo:[0,1] neg_hi:[0,1]
	v_pk_fma_f32 v[74:75], v[74:75], 0.5, v[78:79] op_sel_hi:[1,0,1] neg_lo:[1,0,0] neg_hi:[1,0,0]
	v_pk_mul_f32 v[82:83], v[82:83], s[8:9] op_sel_hi:[1,0]
	s_nop 0
	v_pk_add_f32 v[112:113], v[74:75], v[82:83] op_sel:[0,1] op_sel_hi:[1,0] neg_lo:[0,1] neg_hi:[0,1]
	v_pk_add_f32 v[114:115], v[74:75], v[82:83] op_sel:[0,1] op_sel_hi:[1,0]
	s_waitcnt vmcnt(0)
	v_pk_mul_f32 v[74:75], v[72:73], v[56:57] op_sel:[0,1]
	s_nop 0
	v_pk_fma_f32 v[116:117], v[72:73], v[56:57], v[74:75] op_sel:[0,0,1] op_sel_hi:[1,1,0] neg_lo:[0,0,1] neg_hi:[0,0,1]
	v_pk_fma_f32 v[72:73], v[72:73], v[56:57], v[74:75] op_sel:[0,0,1] op_sel_hi:[1,0,0]
	s_nop 0
	v_mov_b32_e32 v72, v59
	v_mov_b32_e32 v117, v73
	v_pk_mul_f32 v[72:73], v[80:81], v[72:73] op_sel_hi:[1,0]
	s_nop 0
	v_pk_fma_f32 v[118:119], v[80:81], v[58:59], v[72:73] op_sel:[0,0,1] op_sel_hi:[1,1,0] neg_lo:[0,0,1] neg_hi:[0,0,1]
	v_pk_fma_f32 v[72:73], v[80:81], v[58:59], v[72:73] op_sel:[0,0,1] op_sel_hi:[1,0,0]
	s_nop 0
	v_mov_b32_e32 v119, v73
	v_pk_add_f32 v[72:73], v[116:117], v[118:119]
	s_nop 0
	v_pk_fma_f32 v[80:81], v[72:73], 0.5, v[76:77] op_sel_hi:[1,0,1] neg_lo:[1,0,0] neg_hi:[1,0,0]
	v_pk_add_f32 v[72:73], v[116:117], v[118:119] neg_lo:[0,1] neg_hi:[0,1]
	s_nop 0
	v_pk_mul_f32 v[82:83], v[72:73], s[8:9] op_sel_hi:[1,0]
	ds_read2_b64 v[72:75], v96 offset0:16 offset1:82
	v_pk_add_f32 v[122:123], v[80:81], v[82:83] op_sel:[0,1] op_sel_hi:[1,0] neg_lo:[0,1] neg_hi:[0,1]
	v_pk_add_f32 v[126:127], v[80:81], v[82:83] op_sel:[0,1] op_sel_hi:[1,0]
	ds_read2_b64 v[80:83], v135 offset0:132 offset1:198
	ds_read2_b64 v[84:87], v97 offset0:156 offset1:222
	s_waitcnt lgkmcnt(0)
	v_pk_mul_f32 v[128:129], v[74:75], v[52:53] op_sel:[0,1]
	s_barrier
	v_pk_fma_f32 v[130:131], v[74:75], v[52:53], v[128:129] op_sel:[0,0,1] op_sel_hi:[1,1,0] neg_lo:[0,0,1] neg_hi:[0,0,1]
	v_pk_fma_f32 v[74:75], v[74:75], v[52:53], v[128:129] op_sel:[0,0,1] op_sel_hi:[1,0,0]
	v_pk_mul_f32 v[68:69], v[86:87], v[68:69] op_sel_hi:[1,0]
	v_mov_b32_e32 v131, v75
	v_pk_fma_f32 v[74:75], v[86:87], v[54:55], v[68:69] op_sel:[0,0,1] op_sel_hi:[1,1,0] neg_lo:[0,0,1] neg_hi:[0,0,1]
	v_pk_fma_f32 v[68:69], v[86:87], v[54:55], v[68:69] op_sel:[0,0,1] op_sel_hi:[1,0,0]
	s_nop 0
	v_mov_b32_e32 v75, v69
	v_pk_add_f32 v[68:69], v[130:131], v[74:75]
	v_pk_add_f32 v[86:87], v[130:131], v[74:75] neg_lo:[0,1] neg_hi:[0,1]
	v_pk_fma_f32 v[68:69], v[68:69], 0.5, v[82:83] op_sel_hi:[1,0,1] neg_lo:[1,0,0] neg_hi:[1,0,0]
	v_pk_mul_f32 v[86:87], v[86:87], s[8:9] op_sel_hi:[1,0]
	ds_write2_b64 v135, v[100:101], v[106:107] offset1:66
	v_pk_add_f32 v[128:129], v[68:69], v[86:87] op_sel:[0,1] op_sel_hi:[1,0] neg_lo:[0,1] neg_hi:[0,1]
	v_pk_add_f32 v[68:69], v[68:69], v[86:87] op_sel:[0,1] op_sel_hi:[1,0]
	v_pk_mul_f32 v[86:87], v[72:73], v[48:49] op_sel:[0,1]
	v_mov_b32_e32 v100, v94
	v_pk_fma_f32 v[132:133], v[72:73], v[48:49], v[86:87] op_sel:[0,0,1] op_sel_hi:[1,1,0] neg_lo:[0,0,1] neg_hi:[0,0,1]
	v_pk_fma_f32 v[72:73], v[72:73], v[48:49], v[86:87] op_sel:[0,0,1] op_sel_hi:[1,0,0]
	v_mov_b32_e32 v101, v99
	v_mov_b32_e32 v133, v73
	v_pk_mul_f32 v[72:73], v[84:85], v[90:91] op_sel_hi:[1,0]
	v_mov_b32_e32 v99, v95
	v_pk_fma_f32 v[86:87], v[84:85], v[50:51], v[72:73] op_sel:[0,0,1] op_sel_hi:[1,1,0] neg_lo:[0,0,1] neg_hi:[0,0,1]
	v_pk_fma_f32 v[72:73], v[84:85], v[50:51], v[72:73] op_sel:[0,0,1] op_sel_hi:[1,0,0]
	s_nop 0
	v_mov_b32_e32 v87, v73
	v_pk_add_f32 v[72:73], v[132:133], v[86:87]
	v_pk_add_f32 v[84:85], v[132:133], v[86:87] neg_lo:[0,1] neg_hi:[0,1]
	v_pk_fma_f32 v[72:73], v[72:73], 0.5, v[80:81] op_sel_hi:[1,0,1] neg_lo:[1,0,0] neg_hi:[1,0,0]
	v_pk_mul_f32 v[84:85], v[84:85], s[8:9] op_sel_hi:[1,0]
	v_pk_add_f32 v[80:81], v[80:81], v[132:133]
	v_pk_add_f32 v[136:137], v[72:73], v[84:85] op_sel:[0,1] op_sel_hi:[1,0] neg_lo:[0,1] neg_hi:[0,1]
	v_pk_add_f32 v[72:73], v[72:73], v[84:85] op_sel:[0,1] op_sel_hi:[1,0]
	v_mov_b32_e32 v84, v102
	v_mov_b32_e32 v85, v105
	ds_write2_b64 v135, v[84:85], v[100:101] offset0:132 offset1:198
	v_mov_b32_e32 v84, v72
	v_mov_b32_e32 v85, v137
	;; [unrolled: 1-line block ×3, first 2 shown]
	v_pk_add_f32 v[72:73], v[82:83], v[130:131]
	v_pk_add_f32 v[80:81], v[80:81], v[86:87]
	v_pk_add_f32 v[72:73], v[72:73], v[74:75]
	ds_write2_b64 v91, v[80:81], v[72:73] offset0:140 offset1:206
	v_mov_b32_e32 v72, v68
	v_mov_b32_e32 v73, v129
	;; [unrolled: 1-line block ×3, first 2 shown]
	v_pk_add_f32 v[68:69], v[76:77], v[116:117]
	v_mov_b32_e32 v105, v103
	ds_write2_b64 v96, v[84:85], v[72:73] offset0:16 offset1:82
	v_pk_add_f32 v[68:69], v[68:69], v[118:119]
	v_mov_b32_e32 v72, v126
	v_mov_b32_e32 v73, v123
	ds_write2_b64 v91, v[104:105], v[98:99] offset0:8 offset1:74
	ds_write2_b64 v96, v[136:137], v[128:129] offset0:148 offset1:214
	;; [unrolled: 1-line block ×3, first 2 shown]
	v_pk_add_f32 v[68:69], v[78:79], v[108:109]
	v_mov_b32_e32 v123, v127
	v_pk_add_f32 v[68:69], v[68:69], v[110:111]
	v_mov_b32_e32 v72, v114
	v_mov_b32_e32 v73, v113
	v_add_u32_e32 v2, 0x1800, v3
	v_mov_b32_e32 v113, v115
	ds_write_b64 v40, v[122:123] offset:8448
	ds_write2_b64 v2, v[68:69], v[72:73] offset0:24 offset1:156
	ds_write_b64 v3, v[112:113] offset:8448
	s_waitcnt lgkmcnt(0)
	s_barrier
	global_load_dwordx4 v[84:87], v1, s[10:11] offset:3120
	global_load_dwordx4 v[80:83], v0, s[10:11] offset:3120
	v_lshlrev_b32_e32 v0, 4, v138
	global_load_dwordx4 v[76:79], v0, s[10:11] offset:3120
	v_lshlrev_b32_e32 v0, 4, v70
	;; [unrolled: 2-line block ×4, first 2 shown]
	global_load_dwordx4 v[64:67], v0, s[10:11] offset:3120
	ds_read2_b64 v[98:101], v91 offset0:140 offset1:206
	ds_read2_b64 v[102:105], v135 offset1:66
	ds_read2_b64 v[106:109], v97 offset0:24 offset1:90
	v_add_u32_e32 v0, 0x1000, v255
	v_add_u32_e32 v1, 0x1800, v255
	s_mov_b32 s10, s9
	s_mov_b32 s11, s8
	s_waitcnt vmcnt(5) lgkmcnt(2)
	v_pk_mul_f32 v[94:95], v[98:99], v[84:85] op_sel:[0,1]
	s_nop 0
	v_pk_fma_f32 v[118:119], v[98:99], v[84:85], v[94:95] op_sel:[0,0,1] op_sel_hi:[1,1,0] neg_lo:[0,0,1] neg_hi:[0,0,1]
	v_pk_fma_f32 v[94:95], v[98:99], v[84:85], v[94:95] op_sel:[0,0,1] op_sel_hi:[1,0,0]
	v_mov_b32_e32 v88, v87
	s_waitcnt vmcnt(4)
	v_pk_mul_f32 v[98:99], v[100:101], v[80:81] op_sel:[0,1]
	v_mov_b32_e32 v119, v95
	s_waitcnt lgkmcnt(0)
	v_pk_mul_f32 v[94:95], v[106:107], v[88:89] op_sel_hi:[1,0]
	v_pk_fma_f32 v[126:127], v[100:101], v[80:81], v[98:99] op_sel:[0,0,1] op_sel_hi:[1,1,0] neg_lo:[0,0,1] neg_hi:[0,0,1]
	v_pk_fma_f32 v[98:99], v[100:101], v[80:81], v[98:99] op_sel:[0,0,1] op_sel_hi:[1,0,0]
	v_mov_b32_e32 v88, v83
	v_mov_b32_e32 v127, v99
	v_pk_mul_f32 v[98:99], v[108:109], v[88:89] op_sel_hi:[1,0]
	v_pk_fma_f32 v[122:123], v[106:107], v[86:87], v[94:95] op_sel:[0,0,1] op_sel_hi:[1,1,0] neg_lo:[0,0,1] neg_hi:[0,0,1]
	v_pk_fma_f32 v[128:129], v[108:109], v[82:83], v[98:99] op_sel:[0,0,1] op_sel_hi:[1,1,0] neg_lo:[0,0,1] neg_hi:[0,0,1]
	v_pk_fma_f32 v[98:99], v[108:109], v[82:83], v[98:99] op_sel:[0,0,1] op_sel_hi:[1,0,0]
	v_pk_fma_f32 v[94:95], v[106:107], v[86:87], v[94:95] op_sel:[0,0,1] op_sel_hi:[1,0,0]
	v_mov_b32_e32 v129, v99
	ds_read2_b64 v[98:101], v96 offset0:16 offset1:82
	v_pk_add_f32 v[106:107], v[104:105], v[126:127]
	s_waitcnt vmcnt(3)
	v_mov_b32_e32 v88, v79
	v_pk_add_f32 v[130:131], v[106:107], v[128:129]
	ds_read2_b64 v[106:109], v135 offset0:132 offset1:198
	ds_read2_b64 v[110:113], v97 offset0:156 offset1:222
	s_waitcnt lgkmcnt(2)
	v_pk_mul_f32 v[114:115], v[98:99], v[76:77] op_sel:[0,1]
	v_mov_b32_e32 v123, v95
	v_pk_fma_f32 v[132:133], v[98:99], v[76:77], v[114:115] op_sel:[0,0,1] op_sel_hi:[1,1,0] neg_lo:[0,0,1] neg_hi:[0,0,1]
	v_pk_fma_f32 v[98:99], v[98:99], v[76:77], v[114:115] op_sel:[0,0,1] op_sel_hi:[1,0,0]
	v_pk_add_f32 v[94:95], v[102:103], v[118:119]
	v_mov_b32_e32 v133, v99
	s_waitcnt lgkmcnt(0)
	v_pk_mul_f32 v[98:99], v[110:111], v[88:89] op_sel_hi:[1,0]
	s_waitcnt vmcnt(2)
	v_mov_b32_e32 v88, v75
	v_pk_fma_f32 v[136:137], v[110:111], v[78:79], v[98:99] op_sel:[0,0,1] op_sel_hi:[1,1,0] neg_lo:[0,0,1] neg_hi:[0,0,1]
	v_pk_fma_f32 v[98:99], v[110:111], v[78:79], v[98:99] op_sel:[0,0,1] op_sel_hi:[1,0,0]
	v_pk_add_f32 v[94:95], v[94:95], v[122:123]
	v_mov_b32_e32 v137, v99
	v_pk_add_f32 v[98:99], v[106:107], v[132:133]
	s_nop 0
	v_pk_add_f32 v[138:139], v[98:99], v[136:137]
	v_pk_mul_f32 v[98:99], v[100:101], v[72:73] op_sel:[0,1]
	s_nop 0
	v_pk_fma_f32 v[140:141], v[100:101], v[72:73], v[98:99] op_sel:[0,0,1] op_sel_hi:[1,1,0] neg_lo:[0,0,1] neg_hi:[0,0,1]
	v_pk_fma_f32 v[98:99], v[100:101], v[72:73], v[98:99] op_sel:[0,0,1] op_sel_hi:[1,0,0]
	s_nop 0
	v_mov_b32_e32 v141, v99
	v_pk_mul_f32 v[98:99], v[112:113], v[88:89] op_sel_hi:[1,0]
	v_pk_add_f32 v[110:111], v[108:109], v[140:141]
	v_pk_fma_f32 v[142:143], v[112:113], v[74:75], v[98:99] op_sel:[0,0,1] op_sel_hi:[1,1,0] neg_lo:[0,0,1] neg_hi:[0,0,1]
	v_pk_fma_f32 v[98:99], v[112:113], v[74:75], v[98:99] op_sel:[0,0,1] op_sel_hi:[1,0,0]
	s_waitcnt vmcnt(1)
	v_mov_b32_e32 v88, v71
	v_mov_b32_e32 v143, v99
	ds_read2_b64 v[98:101], v96 offset0:148 offset1:214
	v_pk_add_f32 v[144:145], v[110:111], v[142:143]
	ds_read2_b64 v[110:113], v91 offset0:8 offset1:74
	ds_read2_b64 v[114:117], v92 offset0:32 offset1:98
	s_waitcnt lgkmcnt(2)
	v_pk_mul_f32 v[146:147], v[98:99], v[68:69] op_sel:[0,1]
	s_nop 0
	v_pk_fma_f32 v[148:149], v[98:99], v[68:69], v[146:147] op_sel:[0,0,1] op_sel_hi:[1,1,0] neg_lo:[0,0,1] neg_hi:[0,0,1]
	v_pk_fma_f32 v[98:99], v[98:99], v[68:69], v[146:147] op_sel:[0,0,1] op_sel_hi:[1,0,0]
	s_nop 0
	v_mov_b32_e32 v149, v99
	s_waitcnt lgkmcnt(0)
	v_pk_mul_f32 v[98:99], v[114:115], v[88:89] op_sel_hi:[1,0]
	s_waitcnt vmcnt(0)
	v_mov_b32_e32 v88, v67
	v_pk_fma_f32 v[146:147], v[114:115], v[70:71], v[98:99] op_sel:[0,0,1] op_sel_hi:[1,1,0] neg_lo:[0,0,1] neg_hi:[0,0,1]
	v_pk_fma_f32 v[98:99], v[114:115], v[70:71], v[98:99] op_sel:[0,0,1] op_sel_hi:[1,0,0]
	v_pk_mul_f32 v[114:115], v[100:101], v[64:65] op_sel:[0,1]
	v_mov_b32_e32 v147, v99
	v_pk_fma_f32 v[150:151], v[100:101], v[64:65], v[114:115] op_sel:[0,0,1] op_sel_hi:[1,1,0] neg_lo:[0,0,1] neg_hi:[0,0,1]
	v_pk_fma_f32 v[100:101], v[100:101], v[64:65], v[114:115] op_sel:[0,0,1] op_sel_hi:[1,0,0]
	v_pk_add_f32 v[98:99], v[110:111], v[148:149]
	v_mov_b32_e32 v151, v101
	v_pk_mul_f32 v[100:101], v[116:117], v[88:89] op_sel_hi:[1,0]
	v_pk_add_f32 v[98:99], v[98:99], v[146:147]
	v_pk_fma_f32 v[114:115], v[116:117], v[66:67], v[100:101] op_sel:[0,0,1] op_sel_hi:[1,1,0] neg_lo:[0,0,1] neg_hi:[0,0,1]
	v_pk_fma_f32 v[100:101], v[116:117], v[66:67], v[100:101] op_sel:[0,0,1] op_sel_hi:[1,0,0]
	v_pk_add_f32 v[116:117], v[118:119], v[122:123]
	v_mov_b32_e32 v115, v101
	v_pk_fma_f32 v[102:103], v[116:117], 0.5, v[102:103] op_sel_hi:[1,0,1] neg_lo:[1,0,0] neg_hi:[1,0,0]
	v_pk_add_f32 v[116:117], v[118:119], v[122:123] neg_lo:[0,1] neg_hi:[0,1]
	v_pk_add_f32 v[100:101], v[112:113], v[150:151]
	v_pk_mul_f32 v[116:117], v[116:117], s[8:9] op_sel_hi:[1,0]
	v_pk_add_f32 v[100:101], v[100:101], v[114:115]
	v_pk_add_f32 v[118:119], v[102:103], v[116:117] op_sel:[0,1] op_sel_hi:[1,0]
	v_pk_add_f32 v[102:103], v[102:103], v[116:117] op_sel:[0,1] op_sel_hi:[1,0] neg_lo:[0,1] neg_hi:[0,1]
	v_mov_b32_e32 v116, v118
	v_mov_b32_e32 v117, v103
	;; [unrolled: 1-line block ×3, first 2 shown]
	ds_write_b64 v135, v[116:117] offset:3168
	ds_write_b64 v135, v[102:103] offset:6336
	ds_write2_b64 v135, v[94:95], v[130:131] offset1:66
	v_pk_add_f32 v[94:95], v[126:127], v[128:129]
	v_pk_add_f32 v[102:103], v[126:127], v[128:129] neg_lo:[0,1] neg_hi:[0,1]
	v_pk_fma_f32 v[94:95], v[94:95], 0.5, v[104:105] op_sel_hi:[1,0,1] neg_lo:[1,0,0] neg_hi:[1,0,0]
	v_pk_mul_f32 v[102:103], v[102:103], s[8:9] op_sel_hi:[1,0]
	ds_write2_b64 v91, v[98:99], v[100:101] offset0:8 offset1:74
	v_pk_add_f32 v[104:105], v[94:95], v[102:103] op_sel:[0,1] op_sel_hi:[1,0]
	v_pk_add_f32 v[94:95], v[94:95], v[102:103] op_sel:[0,1] op_sel_hi:[1,0] neg_lo:[0,1] neg_hi:[0,1]
	v_mov_b32_e32 v102, v104
	v_mov_b32_e32 v103, v95
	;; [unrolled: 1-line block ×3, first 2 shown]
	ds_write_b64 v135, v[102:103] offset:3696
	ds_write_b64 v135, v[94:95] offset:6864
	v_pk_add_f32 v[94:95], v[132:133], v[136:137]
	v_pk_add_f32 v[102:103], v[132:133], v[136:137] neg_lo:[0,1] neg_hi:[0,1]
	v_pk_fma_f32 v[94:95], v[94:95], 0.5, v[106:107] op_sel_hi:[1,0,1] neg_lo:[1,0,0] neg_hi:[1,0,0]
	v_pk_mul_f32 v[102:103], v[102:103], s[8:9] op_sel_hi:[1,0]
	v_pk_add_f32 v[106:107], v[140:141], v[142:143] neg_lo:[0,1] neg_hi:[0,1]
	v_pk_add_f32 v[104:105], v[94:95], v[102:103] op_sel:[0,1] op_sel_hi:[1,0]
	v_pk_add_f32 v[94:95], v[94:95], v[102:103] op_sel:[0,1] op_sel_hi:[1,0] neg_lo:[0,1] neg_hi:[0,1]
	v_mov_b32_e32 v102, v104
	v_mov_b32_e32 v103, v95
	;; [unrolled: 1-line block ×3, first 2 shown]
	v_pk_add_f32 v[104:105], v[140:141], v[142:143]
	v_pk_mul_f32 v[106:107], v[106:107], s[8:9] op_sel_hi:[1,0]
	v_pk_fma_f32 v[104:105], v[104:105], 0.5, v[108:109] op_sel_hi:[1,0,1] neg_lo:[1,0,0] neg_hi:[1,0,0]
	v_pk_add_f32 v[98:99], v[150:151], v[114:115]
	v_pk_add_f32 v[108:109], v[104:105], v[106:107] op_sel:[0,1] op_sel_hi:[1,0]
	v_pk_add_f32 v[104:105], v[104:105], v[106:107] op_sel:[0,1] op_sel_hi:[1,0] neg_lo:[0,1] neg_hi:[0,1]
	v_mov_b32_e32 v106, v108
	v_mov_b32_e32 v107, v105
	;; [unrolled: 1-line block ×3, first 2 shown]
	ds_write2_b64 v0, v[102:103], v[106:107] offset0:16 offset1:82
	ds_write2_b64 v1, v[94:95], v[104:105] offset0:156 offset1:222
	v_pk_add_f32 v[94:95], v[148:149], v[146:147]
	v_pk_add_f32 v[102:103], v[148:149], v[146:147] neg_lo:[0,1] neg_hi:[0,1]
	v_pk_fma_f32 v[94:95], v[94:95], 0.5, v[110:111] op_sel_hi:[1,0,1] neg_lo:[1,0,0] neg_hi:[1,0,0]
	v_pk_mul_f32 v[102:103], v[102:103], s[8:9] op_sel_hi:[1,0]
	v_pk_add_f32 v[100:101], v[150:151], v[114:115] neg_lo:[0,1] neg_hi:[0,1]
	v_pk_add_f32 v[104:105], v[94:95], v[102:103] op_sel:[0,1] op_sel_hi:[1,0]
	v_pk_add_f32 v[94:95], v[94:95], v[102:103] op_sel:[0,1] op_sel_hi:[1,0] neg_lo:[0,1] neg_hi:[0,1]
	v_pk_fma_f32 v[98:99], v[98:99], 0.5, v[112:113] op_sel_hi:[1,0,1] neg_lo:[1,0,0] neg_hi:[1,0,0]
	v_pk_mul_f32 v[100:101], v[100:101], s[8:9] op_sel_hi:[1,0]
	v_mov_b32_e32 v102, v104
	v_mov_b32_e32 v103, v95
	;; [unrolled: 1-line block ×3, first 2 shown]
	v_pk_add_f32 v[104:105], v[98:99], v[100:101] op_sel:[0,1] op_sel_hi:[1,0]
	v_pk_add_f32 v[98:99], v[98:99], v[100:101] op_sel:[0,1] op_sel_hi:[1,0] neg_lo:[0,1] neg_hi:[0,1]
	v_mov_b32_e32 v100, v104
	v_mov_b32_e32 v101, v99
	ds_write2_b64 v0, v[102:103], v[100:101] offset0:148 offset1:214
	v_mov_b32_e32 v99, v105
	v_add_u32_e32 v0, 0x2000, v255
	ds_write2_b64 v0, v[94:95], v[98:99] offset0:32 offset1:98
	v_add_co_u32_e64 v94, s[2:3], s2, v44
	ds_write2_b64 v135, v[138:139], v[144:145] offset0:132 offset1:198
	s_nop 0
	v_addc_co_u32_e64 v95, s[2:3], 0, v45, s[2:3]
	s_waitcnt lgkmcnt(0)
	s_barrier
	global_load_dwordx2 v[94:95], v[94:95], off offset:1312
	s_mov_b64 s[2:3], 0x2520
	v_lshl_add_u64 v[98:99], v[44:45], 0, s[2:3]
	global_load_dwordx2 v[110:111], v[98:99], off offset:1584
	global_load_dwordx2 v[114:115], v[98:99], off offset:3168
	s_movk_i32 s2, 0x3000
	v_add_co_u32_e64 v100, s[2:3], s2, v44
	s_nop 1
	v_addc_co_u32_e64 v101, s[2:3], 0, v45, s[2:3]
	global_load_dwordx2 v[116:117], v[100:101], off offset:1968
	global_load_dwordx2 v[118:119], v[100:101], off offset:3552
	s_movk_i32 s2, 0x4000
	v_add_co_u32_e64 v44, s[2:3], s2, v44
	s_nop 1
	v_addc_co_u32_e64 v45, s[2:3], 0, v45, s[2:3]
	global_load_dwordx2 v[122:123], v[44:45], off offset:1040
	global_load_dwordx2 v[126:127], v[98:99], off offset:528
	;; [unrolled: 1-line block ×12, first 2 shown]
	ds_read2_b64 v[98:101], v135 offset1:66
	global_load_dwordx2 v[44:45], v[44:45], off offset:2096
	ds_read2_b64 v[102:105], v135 offset0:132 offset1:198
	ds_read2_b64 v[106:109], v91 offset0:140 offset1:206
	;; [unrolled: 1-line block ×3, first 2 shown]
	s_mov_b32 s2, -0.5
	s_mov_b32 s3, s8
	s_waitcnt vmcnt(17) lgkmcnt(3)
	v_mul_f32_e32 v0, v99, v95
	v_fma_f32 v150, v98, v94, -v0
	v_mul_f32_e32 v151, v98, v95
	s_waitcnt vmcnt(16) lgkmcnt(2)
	v_mul_f32_e32 v0, v105, v111
	v_mul_f32_e32 v95, v104, v111
	v_fmac_f32_e32 v151, v99, v94
	v_fma_f32 v94, v104, v110, -v0
	v_fmac_f32_e32 v95, v105, v110
	ds_read2_b64 v[110:113], v96 offset0:16 offset1:82
	s_waitcnt vmcnt(15) lgkmcnt(2)
	v_mul_f32_e32 v0, v107, v115
	v_mul_f32_e32 v153, v106, v115
	v_fma_f32 v152, v106, v114, -v0
	v_fmac_f32_e32 v153, v107, v114
	s_waitcnt vmcnt(14) lgkmcnt(0)
	v_mul_f32_e32 v0, v113, v117
	ds_read2_b64 v[104:107], v97 offset0:24 offset1:90
	v_mul_f32_e32 v155, v112, v117
	v_fma_f32 v154, v112, v116, -v0
	v_fmac_f32_e32 v155, v113, v116
	ds_read2_b64 v[112:115], v97 offset0:156 offset1:222
	s_waitcnt vmcnt(13) lgkmcnt(1)
	v_mul_f32_e32 v0, v105, v119
	v_mul_f32_e32 v157, v104, v119
	v_fma_f32 v156, v104, v118, -v0
	v_fmac_f32_e32 v157, v105, v118
	s_waitcnt vmcnt(12) lgkmcnt(0)
	v_mul_f32_e32 v0, v115, v123
	v_mul_f32_e32 v105, v114, v123
	v_fma_f32 v104, v114, v122, -v0
	v_fmac_f32_e32 v105, v115, v122
	s_waitcnt vmcnt(11)
	v_mul_f32_e32 v0, v101, v127
	ds_read2_b64 v[114:117], v91 offset0:8 offset1:74
	v_mul_f32_e32 v99, v100, v127
	v_fma_f32 v98, v100, v126, -v0
	v_fmac_f32_e32 v99, v101, v126
	ds_write2_b64 v135, v[150:151], v[98:99] offset1:66
	ds_read2_b64 v[98:101], v96 offset0:148 offset1:214
	s_waitcnt vmcnt(10) lgkmcnt(2)
	v_mul_f32_e32 v0, v115, v129
	v_mul_f32_e32 v119, v114, v129
	v_fma_f32 v118, v114, v128, -v0
	v_fmac_f32_e32 v119, v115, v128
	s_waitcnt vmcnt(9)
	v_mul_f32_e32 v0, v109, v131
	v_mul_f32_e32 v115, v108, v131
	v_fma_f32 v114, v108, v130, -v0
	v_fmac_f32_e32 v115, v109, v130
	s_waitcnt vmcnt(8) lgkmcnt(0)
	v_mul_f32_e32 v0, v99, v133
	v_mul_f32_e32 v109, v98, v133
	v_fma_f32 v108, v98, v132, -v0
	v_fmac_f32_e32 v109, v99, v132
	s_waitcnt vmcnt(7)
	v_mul_f32_e32 v0, v107, v137
	v_mul_f32_e32 v99, v106, v137
	v_fma_f32 v98, v106, v136, -v0
	v_fmac_f32_e32 v99, v107, v136
	s_waitcnt vmcnt(6)
	v_mul_f32_e32 v0, v179, v139
	ds_write2_b64 v97, v[156:157], v[98:99] offset0:24 offset1:90
	v_fma_f32 v98, v178, v138, -v0
	s_waitcnt vmcnt(5)
	v_mul_f32_e32 v0, v103, v141
	v_mul_f32_e32 v107, v102, v141
	v_fma_f32 v106, v102, v140, -v0
	v_fmac_f32_e32 v107, v103, v140
	ds_write2_b64 v135, v[106:107], v[94:95] offset0:132 offset1:198
	s_waitcnt vmcnt(4)
	v_mul_f32_e32 v0, v117, v143
	v_mul_f32_e32 v95, v116, v143
	v_fma_f32 v94, v116, v142, -v0
	v_fmac_f32_e32 v95, v117, v142
	ds_write2_b64 v91, v[118:119], v[94:95] offset0:8 offset1:74
	;; [unrolled: 6-line block ×3, first 2 shown]
	v_mul_f32_e32 v0, v101, v145
	v_mul_f32_e32 v95, v100, v145
	v_fma_f32 v94, v100, v144, -v0
	v_fmac_f32_e32 v95, v101, v144
	ds_write2_b64 v96, v[108:109], v[94:95] offset0:148 offset1:214
	s_waitcnt vmcnt(1)
	v_mul_f32_e32 v0, v113, v149
	v_mul_f32_e32 v95, v112, v149
	v_fma_f32 v94, v112, v148, -v0
	v_fmac_f32_e32 v95, v113, v148
	v_mul_f32_e32 v99, v178, v139
	ds_write2_b64 v97, v[94:95], v[104:105] offset0:156 offset1:222
	s_waitcnt vmcnt(0)
	v_mul_f32_e32 v0, v181, v45
	v_mul_f32_e32 v95, v180, v45
	v_fmac_f32_e32 v99, v179, v138
	v_fma_f32 v94, v180, v44, -v0
	v_fmac_f32_e32 v95, v181, v44
	ds_write2_b64 v91, v[152:153], v[114:115] offset0:140 offset1:206
	ds_write2_b64 v92, v[98:99], v[94:95] offset0:32 offset1:98
	s_waitcnt lgkmcnt(0)
	s_barrier
	ds_read2_b64 v[100:103], v96 offset0:148 offset1:214
	ds_read2_b64 v[104:107], v92 offset0:32 offset1:98
	ds_read2_b64 v[108:111], v91 offset0:8 offset1:74
	ds_read2_b64 v[112:115], v135 offset0:132 offset1:198
	ds_read2_b64 v[116:119], v96 offset0:16 offset1:82
	ds_read2_b64 v[178:181], v97 offset0:156 offset1:222
	s_waitcnt lgkmcnt(4)
	v_pk_add_f32 v[44:45], v[100:101], v[104:105]
	v_pk_add_f32 v[92:93], v[100:101], v[104:105] neg_lo:[0,1] neg_hi:[0,1]
	s_waitcnt lgkmcnt(3)
	v_pk_fma_f32 v[44:45], v[44:45], 0.5, v[108:109] op_sel_hi:[1,0,1] neg_lo:[1,0,0] neg_hi:[1,0,0]
	v_pk_mul_f32 v[92:93], v[92:93], s[8:9] op_sel_hi:[1,0]
	v_add_f32_e32 v0, v102, v106
	v_pk_add_f32 v[122:123], v[44:45], v[92:93] op_sel:[0,1] op_sel_hi:[1,0] neg_lo:[0,1] neg_hi:[0,1]
	v_pk_add_f32 v[126:127], v[92:93], v[44:45] op_sel:[1,0] op_sel_hi:[0,1]
	v_fma_f32 v92, -0.5, v0, v110
	v_sub_f32_e32 v0, v103, v107
	v_fmamk_f32 v1, v0, 0xbf5db3d7, v92
	v_fmac_f32_e32 v92, 0x3f5db3d7, v0
	v_add_f32_e32 v0, v103, v107
	v_fma_f32 v94, -0.5, v0, v111
	v_sub_f32_e32 v0, v102, v106
	s_waitcnt lgkmcnt(0)
	v_pk_add_f32 v[138:139], v[116:117], v[178:179]
	v_pk_add_f32 v[140:141], v[116:117], v[178:179] neg_lo:[0,1] neg_hi:[0,1]
	v_mov_b32_e32 v44, v126
	v_mov_b32_e32 v45, v123
	v_fmamk_f32 v2, v0, 0x3f5db3d7, v94
	v_pk_fma_f32 v[138:139], v[138:139], 0.5, v[112:113] op_sel_hi:[1,0,1] neg_lo:[1,0,0] neg_hi:[1,0,0]
	v_pk_mul_f32 v[140:141], v[140:141], s[8:9] op_sel_hi:[1,0]
	v_pk_mul_f32 v[128:129], v[44:45], s[8:9]
	v_add_f32_e32 v45, v110, v102
	v_mul_f32_e32 v99, 0.5, v1
	v_mul_f32_e32 v131, 0x3f5db3d7, v2
	v_mov_b32_e32 v130, v141
	v_mov_b32_e32 v98, v138
	;; [unrolled: 1-line block ×4, first 2 shown]
	v_pk_add_f32 v[130:131], v[98:99], v[130:131] neg_lo:[0,1] neg_hi:[0,1]
	v_pk_add_f32 v[98:99], v[110:111], v[102:103]
	v_mov_b32_e32 v102, v179
	v_mov_b32_e32 v103, v107
	v_pk_add_f32 v[136:137], v[112:113], v[116:117]
	v_pk_add_f32 v[116:117], v[98:99], v[102:103]
	v_pk_add_f32 v[102:103], v[138:139], v[140:141] op_sel:[0,1] op_sel_hi:[1,0]
	v_pk_add_f32 v[98:99], v[138:139], v[140:141] op_sel:[0,1] op_sel_hi:[1,0] neg_lo:[0,1] neg_hi:[0,1]
	ds_read2_b64 v[110:113], v135 offset1:66
	ds_read2_b64 v[182:185], v91 offset0:140 offset1:206
	ds_read2_b64 v[186:189], v97 offset0:24 offset1:90
	v_fmac_f32_e32 v94, 0xbf5db3d7, v0
	v_mul_f32_e32 v44, 0x3f5db3d7, v1
	v_mul_f32_e32 v132, 0.5, v2
	v_mov_b32_e32 v103, v99
	v_mov_b32_e32 v133, v106
	;; [unrolled: 1-line block ×5, first 2 shown]
	v_pk_add_f32 v[44:45], v[44:45], v[132:133]
	v_pk_add_f32 v[106:107], v[140:141], v[98:99]
	v_pk_mul_f32 v[94:95], v[94:95], s[8:9] op_sel_hi:[0,1]
	v_pk_fma_f32 v[132:133], v[92:93], s[2:3], v[94:95] op_sel_hi:[0,1,1] neg_lo:[0,0,1] neg_hi:[0,0,1]
	v_mov_b32_e32 v92, v107
	v_mov_b32_e32 v93, v116
	v_mov_b32_e32 v94, v45
	v_mov_b32_e32 v95, v117
	v_pk_add_f32 v[214:215], v[106:107], v[44:45]
	v_pk_add_f32 v[98:99], v[102:103], v[132:133]
	v_pk_add_f32 v[92:93], v[92:93], v[94:95] neg_lo:[0,1] neg_hi:[0,1]
	v_mov_b32_e32 v94, v130
	v_mov_b32_e32 v95, v106
	;; [unrolled: 1-line block ×4, first 2 shown]
	v_pk_add_f32 v[44:45], v[102:103], v[132:133] neg_lo:[0,1] neg_hi:[0,1]
	s_waitcnt lgkmcnt(1)
	v_pk_add_f32 v[102:103], v[112:113], v[184:185]
	v_pk_add_f32 v[94:95], v[94:95], v[106:107] neg_lo:[0,1] neg_hi:[0,1]
	s_waitcnt lgkmcnt(0)
	v_pk_add_f32 v[106:107], v[102:103], v[188:189]
	v_pk_add_f32 v[102:103], v[110:111], v[182:183]
	v_pk_add_f32 v[100:101], v[108:109], v[100:101]
	v_pk_add_f32 v[132:133], v[102:103], v[186:187]
	v_pk_add_f32 v[102:103], v[118:119], v[180:181]
	v_pk_add_f32 v[108:109], v[100:101], v[104:105]
	v_fma_f32 v136, -0.5, v102, v114
	v_pk_add_f32 v[104:105], v[118:119], v[180:181] neg_lo:[0,1] neg_hi:[0,1]
	v_pk_add_f32 v[118:119], v[114:115], v[118:119]
	v_fma_f32 v114, -0.5, v103, v115
	v_fmamk_f32 v138, v105, 0xbf5db3d7, v136
	v_fmac_f32_e32 v136, 0x3f5db3d7, v105
	v_fmamk_f32 v140, v104, 0x3f5db3d7, v114
	v_fmac_f32_e32 v114, 0xbf5db3d7, v104
	v_pk_add_f32 v[104:105], v[182:183], v[186:187]
	v_pk_add_f32 v[118:119], v[118:119], v[180:181]
	v_pk_fma_f32 v[104:105], v[104:105], 0.5, v[110:111] op_sel_hi:[1,0,1] neg_lo:[1,0,0] neg_hi:[1,0,0]
	v_pk_add_f32 v[110:111], v[182:183], v[186:187] neg_lo:[0,1] neg_hi:[0,1]
	v_pk_add_f32 v[102:103], v[132:133], v[118:119]
	v_pk_mul_f32 v[110:111], v[110:111], s[8:9] op_sel_hi:[1,0]
	s_nop 0
	v_pk_add_f32 v[142:143], v[104:105], v[110:111] op_sel:[0,1] op_sel_hi:[1,0] neg_lo:[0,1] neg_hi:[0,1]
	v_pk_add_f32 v[110:111], v[104:105], v[110:111] op_sel:[0,1] op_sel_hi:[1,0]
	v_pk_mul_f32 v[104:105], v[140:141], s[8:9] op_sel_hi:[0,1]
	v_pk_fma_f32 v[140:141], v[138:139], s[10:11], v[104:105] neg_lo:[0,0,1] neg_hi:[0,0,1]
	v_pk_fma_f32 v[104:105], v[138:139], s[10:11], v[104:105] op_sel_hi:[0,1,1]
	v_mov_b32_e32 v144, v142
	v_mov_b32_e32 v145, v111
	;; [unrolled: 1-line block ×3, first 2 shown]
	v_pk_add_f32 v[104:105], v[144:145], v[140:141]
	s_barrier
	ds_write_b128 v89, v[102:105]
	v_pk_mul_f32 v[102:103], v[114:115], s[8:9] op_sel_hi:[0,1]
	v_pk_fma_f32 v[114:115], v[136:137], s[2:3], v[102:103] op_sel_hi:[0,1,1] neg_lo:[0,0,1] neg_hi:[0,0,1]
	v_mov_b32_e32 v111, v143
	v_pk_add_f32 v[102:103], v[110:111], v[114:115]
	v_pk_add_f32 v[104:105], v[132:133], v[118:119] neg_lo:[0,1] neg_hi:[0,1]
	ds_write_b128 v89, v[102:105] offset:16
	v_pk_add_f32 v[102:103], v[144:145], v[140:141] neg_lo:[0,1] neg_hi:[0,1]
	v_pk_add_f32 v[104:105], v[110:111], v[114:115] neg_lo:[0,1] neg_hi:[0,1]
	ds_write_b128 v89, v[102:105] offset:32
	v_pk_mul_f32 v[102:103], v[126:127], s[8:9] op_sel:[1,0]
	v_pk_add_f32 v[110:111], v[184:185], v[188:189] neg_lo:[0,1] neg_hi:[0,1]
	v_pk_fma_f32 v[104:105], v[122:123], s[10:11], v[102:103] neg_lo:[0,0,1] neg_hi:[0,0,1]
	v_pk_fma_f32 v[102:103], v[122:123], s[10:11], v[102:103] op_sel_hi:[0,1,1]
	v_mov_b32_e32 v105, v103
	v_pk_add_f32 v[102:103], v[184:185], v[188:189]
	v_pk_mul_f32 v[110:111], v[110:111], s[8:9] op_sel_hi:[1,0]
	v_pk_fma_f32 v[102:103], v[102:103], 0.5, v[112:113] op_sel_hi:[1,0,1] neg_lo:[1,0,0] neg_hi:[1,0,0]
	v_mul_f32_e32 v88, -0.5, v126
	v_pk_add_f32 v[112:113], v[102:103], v[110:111] op_sel:[0,1] op_sel_hi:[1,0] neg_lo:[0,1] neg_hi:[0,1]
	v_pk_add_f32 v[110:111], v[102:103], v[110:111] op_sel:[0,1] op_sel_hi:[1,0]
	v_mov_b32_e32 v114, v112
	v_mov_b32_e32 v115, v111
	v_mul_f32_e32 v90, 0x3f5db3d7, v123
	v_pk_add_f32 v[100:101], v[106:107], v[108:109]
	v_pk_add_f32 v[102:103], v[114:115], v[104:105]
	v_mov_b32_e32 v89, v128
	v_mov_b32_e32 v91, v129
	ds_write_b128 v121, v[100:103]
	v_pk_add_f32 v[100:101], v[88:89], v[90:91] neg_lo:[0,1] neg_hi:[0,1]
	v_mov_b32_e32 v111, v113
	v_pk_add_f32 v[88:89], v[110:111], v[100:101]
	v_pk_add_f32 v[90:91], v[106:107], v[108:109] neg_lo:[0,1] neg_hi:[0,1]
	ds_write_b128 v121, v[88:91] offset:16
	v_pk_add_f32 v[88:89], v[114:115], v[104:105] neg_lo:[0,1] neg_hi:[0,1]
	v_pk_add_f32 v[90:91], v[110:111], v[100:101] neg_lo:[0,1] neg_hi:[0,1]
	ds_write_b128 v121, v[88:91] offset:32
	v_mov_b32_e32 v88, v116
	v_mov_b32_e32 v89, v130
	;; [unrolled: 1-line block ×3, first 2 shown]
	v_pk_add_f32 v[232:233], v[88:89], v[130:131]
	v_mov_b32_e32 v100, v215
	v_mov_b32_e32 v101, v232
	;; [unrolled: 1-line block ×3, first 2 shown]
	v_accvgpr_read_b32 v0, a45
	ds_write_b96 v124, v[100:102]
	ds_write2_b32 v0, v214, v98 offset0:2 offset1:3
	ds_write2_b32 v0, v99, v92 offset0:4 offset1:5
	;; [unrolled: 1-line block ×4, first 2 shown]
	ds_write_b32 v0, v45 offset:40
	v_add_u32_e32 v0, 0x400, v135
	s_waitcnt lgkmcnt(0)
	s_barrier
	ds_read2_b64 v[116:119], v0 offset0:88 offset1:196
	v_add_u32_e32 v0, 0xc00, v135
	ds_read2_b64 v[100:103], v135 offset1:108
	ds_read2_b64 v[112:115], v0 offset0:48 offset1:156
	ds_read2_b64 v[108:111], v96 offset0:136 offset1:244
	;; [unrolled: 1-line block ×3, first 2 shown]
	ds_read_b64 v[234:235], v135 offset:8640
	v_mov_b32_e32 v88, v95
	v_mov_b32_e32 v89, v44
	s_and_saveexec_b64 s[2:3], s[0:1]
	s_xor_b64 s[0:1], exec, s[2:3]
	s_or_saveexec_b64 s[0:1], s[0:1]
	v_mov_b32_e32 v250, v22
	v_mov_b32_e32 v251, v22
	v_mov_b32_e32 v22, v23
	v_mov_b32_e32 v248, v32
	v_mov_b32_e32 v249, v32
	v_mov_b32_e32 v32, v33
	v_mov_b32_e32 v246, v34
	v_mov_b32_e32 v247, v34
	v_mov_b32_e32 v34, v35
	v_mov_b32_e32 v244, v28
	v_mov_b32_e32 v245, v28
	v_mov_b32_e32 v28, v29
	v_mov_b32_e32 v242, v30
	v_mov_b32_e32 v243, v30
	v_mov_b32_e32 v30, v31
	v_mov_b32_e32 v240, v24
	v_mov_b32_e32 v241, v24
	v_mov_b32_e32 v24, v25
	v_mov_b32_e32 v238, v26
	v_mov_b32_e32 v239, v26
	v_mov_b32_e32 v26, v27
	v_mov_b32_e32 v236, v36
	v_mov_b32_e32 v237, v36
	v_mov_b32_e32 v36, v37
	v_mov_b32_e32 v160, v38
	v_mov_b32_e32 v161, v38
	v_mov_b32_e32 v38, v39
	s_xor_b64 exec, exec, s[0:1]
	s_cbranch_execz .LBB0_9
; %bb.8:
	v_add_u32_e32 v0, 0x800, v135
	ds_read2_b64 v[96:99], v0 offset0:26 offset1:134
	v_add_u32_e32 v0, 0xc00, v135
	ds_read2_b64 v[92:95], v0 offset0:114 offset1:222
	;; [unrolled: 2-line block ×3, first 2 shown]
	ds_read2_b64 v[44:47], v0 offset0:74 offset1:182
	v_add_u32_e32 v0, 0x1c00, v135
	ds_read2_b64 a[48:51], v0 offset0:34 offset1:142
	ds_read_b64 a[46:47], v135 offset:9168
	s_waitcnt lgkmcnt(5)
	v_mov_b32_e32 v214, v97
	s_waitcnt lgkmcnt(3)
	v_mov_b32_e32 v215, v90
	v_mov_b32_e32 v233, v96
	;; [unrolled: 1-line block ×3, first 2 shown]
	v_mov_b64_e32 v[90:91], v[88:89]
.LBB0_9:
	s_or_b64 exec, exec, s[0:1]
	s_waitcnt lgkmcnt(5)
	v_pk_mul_f32 v[22:23], v[22:23], v[116:117]
	v_pk_mul_f32 v[32:33], v[32:33], v[118:119]
	v_pk_fma_f32 v[126:127], v[250:251], v[116:117], v[22:23] op_sel:[0,0,1] op_sel_hi:[1,1,0]
	v_pk_fma_f32 v[22:23], v[250:251], v[116:117], v[22:23] op_sel:[0,0,1] op_sel_hi:[1,1,0] neg_lo:[0,0,1] neg_hi:[0,0,1]
	s_waitcnt lgkmcnt(3)
	v_pk_mul_f32 v[34:35], v[34:35], v[112:113]
	v_mov_b32_e32 v127, v23
	v_pk_fma_f32 v[22:23], v[248:249], v[118:119], v[32:33] op_sel:[0,0,1] op_sel_hi:[1,1,0]
	v_pk_fma_f32 v[32:33], v[248:249], v[118:119], v[32:33] op_sel:[0,0,1] op_sel_hi:[1,1,0] neg_lo:[0,0,1] neg_hi:[0,0,1]
	v_pk_mul_f32 v[28:29], v[28:29], v[114:115]
	v_mov_b32_e32 v23, v33
	v_pk_fma_f32 v[32:33], v[246:247], v[112:113], v[34:35] op_sel:[0,0,1] op_sel_hi:[1,1,0]
	v_pk_fma_f32 v[34:35], v[246:247], v[112:113], v[34:35] op_sel:[0,0,1] op_sel_hi:[1,1,0] neg_lo:[0,0,1] neg_hi:[0,0,1]
	s_waitcnt lgkmcnt(2)
	v_pk_mul_f32 v[30:31], v[30:31], v[108:109]
	v_mov_b32_e32 v33, v35
	v_pk_fma_f32 v[34:35], v[244:245], v[114:115], v[28:29] op_sel:[0,0,1] op_sel_hi:[1,1,0]
	v_pk_fma_f32 v[28:29], v[244:245], v[114:115], v[28:29] op_sel:[0,0,1] op_sel_hi:[1,1,0] neg_lo:[0,0,1] neg_hi:[0,0,1]
	v_pk_mul_f32 v[24:25], v[24:25], v[110:111]
	v_mov_b32_e32 v35, v29
	;; [unrolled: 9-line block ×3, first 2 shown]
	v_pk_fma_f32 v[24:25], v[238:239], v[104:105], v[26:27] op_sel:[0,0,1] op_sel_hi:[1,1,0]
	v_pk_fma_f32 v[26:27], v[238:239], v[104:105], v[26:27] op_sel:[0,0,1] op_sel_hi:[1,1,0] neg_lo:[0,0,1] neg_hi:[0,0,1]
	s_waitcnt lgkmcnt(0)
	v_pk_mul_f32 v[38:39], v[38:39], v[234:235]
	v_mov_b32_e32 v25, v27
	v_pk_fma_f32 v[26:27], v[236:237], v[106:107], v[36:37] op_sel:[0,0,1] op_sel_hi:[1,1,0]
	v_pk_fma_f32 v[36:37], v[236:237], v[106:107], v[36:37] op_sel:[0,0,1] op_sel_hi:[1,1,0] neg_lo:[0,0,1] neg_hi:[0,0,1]
	v_pk_mul_f32 v[122:123], v[20:21], v[102:103] op_sel:[1,0]
	v_mov_b32_e32 v27, v37
	v_pk_fma_f32 v[36:37], v[160:161], v[234:235], v[38:39] op_sel:[0,0,1] op_sel_hi:[1,1,0]
	v_pk_fma_f32 v[38:39], v[160:161], v[234:235], v[38:39] op_sel:[0,0,1] op_sel_hi:[1,1,0] neg_lo:[0,0,1] neg_hi:[0,0,1]
	s_mov_b32 s14, 0xbf0a6770
	v_mov_b32_e32 v37, v39
	v_pk_fma_f32 v[38:39], v[20:21], v[102:103], v[122:123] op_sel:[0,0,1] op_sel_hi:[1,1,0]
	v_pk_fma_f32 v[20:21], v[20:21], v[102:103], v[122:123] op_sel:[0,0,1] op_sel_hi:[0,1,0] neg_lo:[0,0,1] neg_hi:[0,0,1]
	v_mov_b32_e32 v39, v21
	v_pk_add_f32 v[20:21], v[100:101], v[38:39]
	v_pk_add_f32 v[102:103], v[38:39], v[36:37]
	;; [unrolled: 1-line block ×3, first 2 shown]
	s_mov_b32 s0, 0x3f575c64
	v_pk_add_f32 v[20:21], v[20:21], v[22:23]
	v_pk_add_f32 v[108:109], v[126:127], v[26:27]
	;; [unrolled: 1-line block ×3, first 2 shown]
	s_mov_b32 s30, 0xbf68dda4
	v_pk_add_f32 v[20:21], v[20:21], v[34:35]
	s_mov_b32 s2, 0x3ed4b147
	v_pk_add_f32 v[20:21], v[20:21], v[28:29]
	;; [unrolled: 2-line block ×5, first 2 shown]
	v_pk_add_f32 v[26:27], v[126:127], v[26:27] neg_lo:[0,1] neg_hi:[0,1]
	v_pk_add_f32 v[20:21], v[20:21], v[36:37]
	v_pk_add_f32 v[36:37], v[38:39], v[36:37] neg_lo:[0,1] neg_hi:[0,1]
	v_pk_mul_f32 v[110:111], v[26:27], s[30:31] op_sel_hi:[1,0]
	v_pk_mul_f32 v[38:39], v[36:37], s[14:15] op_sel_hi:[1,0]
	v_pk_fma_f32 v[112:113], v[108:109], s[2:3], v[110:111] op_sel:[0,0,1] op_sel_hi:[1,0,0]
	v_pk_fma_f32 v[104:105], v[102:103], s[0:1], v[38:39] op_sel:[0,0,1] op_sel_hi:[1,0,0]
	v_pk_fma_f32 v[38:39], v[102:103], s[0:1], v[38:39] op_sel:[0,0,1] op_sel_hi:[1,0,0] neg_lo:[0,0,1] neg_hi:[0,0,1]
	v_mov_b32_e32 v106, v104
	v_mov_b32_e32 v107, v39
	v_pk_fma_f32 v[110:111], v[108:109], s[2:3], v[110:111] op_sel:[0,0,1] op_sel_hi:[1,0,0] neg_lo:[0,0,1] neg_hi:[0,0,1]
	v_pk_add_f32 v[106:107], v[100:101], v[106:107]
	v_mov_b32_e32 v114, v112
	v_mov_b32_e32 v115, v111
	v_pk_add_f32 v[106:107], v[114:115], v[106:107]
	v_pk_add_f32 v[114:115], v[22:23], v[24:25]
	v_pk_add_f32 v[22:23], v[22:23], v[24:25] neg_lo:[0,1] neg_hi:[0,1]
	s_mov_b32 s16, 0xbf27a4f4
	v_pk_mul_f32 v[24:25], v[22:23], s[10:11] op_sel_hi:[1,0]
	s_mov_b32 s22, 0xbe903f40
	v_pk_fma_f32 v[116:117], v[114:115], s[8:9], v[24:25] op_sel:[0,0,1] op_sel_hi:[1,0,0]
	v_pk_fma_f32 v[24:25], v[114:115], s[8:9], v[24:25] op_sel:[0,0,1] op_sel_hi:[1,0,0] neg_lo:[0,0,1] neg_hi:[0,0,1]
	v_mov_b32_e32 v118, v116
	v_mov_b32_e32 v119, v25
	v_pk_add_f32 v[106:107], v[118:119], v[106:107]
	v_pk_add_f32 v[118:119], v[32:33], v[30:31]
	v_pk_add_f32 v[30:31], v[32:33], v[30:31] neg_lo:[0,1] neg_hi:[0,1]
	s_mov_b32 s20, 0xbf75a155
	v_pk_mul_f32 v[32:33], v[30:31], s[18:19] op_sel_hi:[1,0]
	s_nop 0
	v_pk_fma_f32 v[122:123], v[118:119], s[16:17], v[32:33] op_sel:[0,0,1] op_sel_hi:[1,0,0]
	v_pk_fma_f32 v[32:33], v[118:119], s[16:17], v[32:33] op_sel:[0,0,1] op_sel_hi:[1,0,0] neg_lo:[0,0,1] neg_hi:[0,0,1]
	v_mov_b32_e32 v126, v122
	v_mov_b32_e32 v127, v33
	v_pk_add_f32 v[106:107], v[126:127], v[106:107]
	v_pk_add_f32 v[126:127], v[34:35], v[28:29]
	v_pk_add_f32 v[28:29], v[34:35], v[28:29] neg_lo:[0,1] neg_hi:[0,1]
	s_barrier
	v_pk_mul_f32 v[34:35], v[28:29], s[22:23] op_sel_hi:[1,0]
	s_nop 0
	v_pk_fma_f32 v[128:129], v[126:127], s[20:21], v[34:35] op_sel:[0,0,1] op_sel_hi:[1,0,0]
	v_pk_fma_f32 v[34:35], v[126:127], s[20:21], v[34:35] op_sel:[0,0,1] op_sel_hi:[1,0,0] neg_lo:[0,0,1] neg_hi:[0,0,1]
	v_mov_b32_e32 v130, v128
	v_mov_b32_e32 v131, v35
	v_pk_add_f32 v[106:107], v[130:131], v[106:107]
	ds_write2_b64 v158, v[20:21], v[106:107] offset1:6
	v_pk_mul_f32 v[20:21], v[36:37], s[30:31] op_sel_hi:[1,0]
	v_pk_mul_f32 v[132:133], v[26:27], s[18:19] op_sel_hi:[1,0]
	v_pk_fma_f32 v[106:107], v[102:103], s[2:3], v[20:21] op_sel:[0,0,1] op_sel_hi:[1,0,0]
	v_pk_fma_f32 v[20:21], v[102:103], s[2:3], v[20:21] op_sel:[0,0,1] op_sel_hi:[1,0,0] neg_lo:[0,0,1] neg_hi:[0,0,1]
	v_mov_b32_e32 v130, v106
	v_mov_b32_e32 v131, v21
	v_pk_fma_f32 v[136:137], v[108:109], s[16:17], v[132:133] op_sel:[0,0,1] op_sel_hi:[1,0,0]
	v_pk_fma_f32 v[132:133], v[108:109], s[16:17], v[132:133] op_sel:[0,0,1] op_sel_hi:[1,0,0] neg_lo:[0,0,1] neg_hi:[0,0,1]
	v_pk_add_f32 v[130:131], v[100:101], v[130:131]
	v_mov_b32_e32 v138, v136
	v_mov_b32_e32 v139, v133
	s_mov_b32 s34, 0x3e903f40
	v_pk_add_f32 v[130:131], v[138:139], v[130:131]
	v_pk_mul_f32 v[138:139], v[22:23], s[34:35] op_sel_hi:[1,0]
	s_mov_b32 s28, 0x3f7d64f0
	v_pk_fma_f32 v[140:141], v[114:115], s[20:21], v[138:139] op_sel:[0,0,1] op_sel_hi:[1,0,0]
	v_pk_fma_f32 v[138:139], v[114:115], s[20:21], v[138:139] op_sel:[0,0,1] op_sel_hi:[1,0,0] neg_lo:[0,0,1] neg_hi:[0,0,1]
	v_mov_b32_e32 v142, v140
	v_mov_b32_e32 v143, v139
	v_pk_add_f32 v[130:131], v[142:143], v[130:131]
	v_pk_mul_f32 v[142:143], v[30:31], s[28:29] op_sel_hi:[1,0]
	s_mov_b32 s24, 0x3f0a6770
	v_pk_fma_f32 v[144:145], v[118:119], s[8:9], v[142:143] op_sel:[0,0,1] op_sel_hi:[1,0,0]
	v_pk_fma_f32 v[142:143], v[118:119], s[8:9], v[142:143] op_sel:[0,0,1] op_sel_hi:[1,0,0] neg_lo:[0,0,1] neg_hi:[0,0,1]
	v_mov_b32_e32 v146, v144
	v_mov_b32_e32 v147, v143
	v_pk_add_f32 v[130:131], v[146:147], v[130:131]
	v_pk_mul_f32 v[146:147], v[28:29], s[24:25] op_sel_hi:[1,0]
	v_pk_mul_f32 v[156:157], v[26:27], s[34:35] op_sel_hi:[1,0]
	v_pk_fma_f32 v[148:149], v[126:127], s[0:1], v[146:147] op_sel:[0,0,1] op_sel_hi:[1,0,0]
	v_pk_fma_f32 v[146:147], v[126:127], s[0:1], v[146:147] op_sel:[0,0,1] op_sel_hi:[1,0,0] neg_lo:[0,0,1] neg_hi:[0,0,1]
	v_mov_b32_e32 v150, v148
	v_mov_b32_e32 v151, v147
	v_pk_add_f32 v[130:131], v[150:151], v[130:131]
	v_pk_mul_f32 v[150:151], v[36:37], s[10:11] op_sel_hi:[1,0]
	v_mov_b32_e32 v104, v158
	v_pk_fma_f32 v[152:153], v[102:103], s[8:9], v[150:151] op_sel:[0,0,1] op_sel_hi:[1,0,0]
	v_pk_fma_f32 v[150:151], v[102:103], s[8:9], v[150:151] op_sel:[0,0,1] op_sel_hi:[1,0,0] neg_lo:[0,0,1] neg_hi:[0,0,1]
	v_mov_b32_e32 v154, v152
	v_mov_b32_e32 v155, v151
	v_pk_fma_f32 v[158:159], v[108:109], s[20:21], v[156:157] op_sel:[0,0,1] op_sel_hi:[1,0,0]
	v_pk_fma_f32 v[156:157], v[108:109], s[20:21], v[156:157] op_sel:[0,0,1] op_sel_hi:[1,0,0] neg_lo:[0,0,1] neg_hi:[0,0,1]
	v_pk_add_f32 v[154:155], v[100:101], v[154:155]
	v_mov_b32_e32 v160, v158
	v_mov_b32_e32 v161, v157
	s_mov_b32 s26, 0x3f68dda4
	v_pk_add_f32 v[154:155], v[160:161], v[154:155]
	v_pk_mul_f32 v[160:161], v[22:23], s[26:27] op_sel_hi:[1,0]
	v_pk_mul_f32 v[246:247], v[26:27], s[28:29] op_sel_hi:[1,0]
	v_pk_fma_f32 v[234:235], v[114:115], s[2:3], v[160:161] op_sel:[0,0,1] op_sel_hi:[1,0,0]
	v_pk_fma_f32 v[160:161], v[114:115], s[2:3], v[160:161] op_sel:[0,0,1] op_sel_hi:[1,0,0] neg_lo:[0,0,1] neg_hi:[0,0,1]
	v_mov_b32_e32 v236, v234
	v_mov_b32_e32 v237, v161
	v_pk_add_f32 v[154:155], v[236:237], v[154:155]
	v_pk_mul_f32 v[236:237], v[30:31], s[14:15] op_sel_hi:[1,0]
	v_pk_fma_f32 v[248:249], v[108:109], s[8:9], v[246:247] op_sel:[0,0,1] op_sel_hi:[1,0,0]
	v_pk_fma_f32 v[238:239], v[118:119], s[0:1], v[236:237] op_sel:[0,0,1] op_sel_hi:[1,0,0]
	v_pk_fma_f32 v[236:237], v[118:119], s[0:1], v[236:237] op_sel:[0,0,1] op_sel_hi:[1,0,0] neg_lo:[0,0,1] neg_hi:[0,0,1]
	v_mov_b32_e32 v240, v238
	v_mov_b32_e32 v241, v237
	v_pk_add_f32 v[154:155], v[240:241], v[154:155]
	v_pk_mul_f32 v[240:241], v[28:29], s[18:19] op_sel_hi:[1,0]
	v_pk_fma_f32 v[246:247], v[108:109], s[8:9], v[246:247] op_sel:[0,0,1] op_sel_hi:[1,0,0] neg_lo:[0,0,1] neg_hi:[0,0,1]
	v_pk_fma_f32 v[242:243], v[126:127], s[16:17], v[240:241] op_sel:[0,0,1] op_sel_hi:[1,0,0]
	v_pk_fma_f32 v[240:241], v[126:127], s[16:17], v[240:241] op_sel:[0,0,1] op_sel_hi:[1,0,0] neg_lo:[0,0,1] neg_hi:[0,0,1]
	v_mov_b32_e32 v244, v242
	v_mov_b32_e32 v245, v241
	v_pk_add_f32 v[154:155], v[244:245], v[154:155]
	ds_write2_b64 v104, v[130:131], v[154:155] offset0:12 offset1:18
	v_pk_mul_f32 v[130:131], v[36:37], s[18:19] op_sel_hi:[1,0]
	v_add_u32_e32 v0, 0x420, v255
	v_pk_fma_f32 v[154:155], v[102:103], s[16:17], v[130:131] op_sel:[0,0,1] op_sel_hi:[1,0,0]
	v_pk_fma_f32 v[130:131], v[102:103], s[16:17], v[130:131] op_sel:[0,0,1] op_sel_hi:[1,0,0] neg_lo:[0,0,1] neg_hi:[0,0,1]
	v_mov_b32_e32 v244, v154
	v_mov_b32_e32 v245, v131
	v_pk_add_f32 v[244:245], v[100:101], v[244:245]
	v_mov_b32_e32 v250, v248
	v_mov_b32_e32 v251, v247
	v_accvgpr_write_b32 a62, v0
	v_add_u32_e32 v0, 0x630, v255
	v_pk_add_f32 v[244:245], v[250:251], v[244:245]
	v_pk_mul_f32 v[250:251], v[22:23], s[14:15] op_sel_hi:[1,0]
	v_accvgpr_write_b32 a61, v0
	v_add_u32_e32 v0, 0x840, v255
	v_pk_fma_f32 v[252:253], v[114:115], s[0:1], v[250:251] op_sel:[0,0,1] op_sel_hi:[1,0,0]
	v_pk_fma_f32 v[250:251], v[114:115], s[0:1], v[250:251] op_sel:[0,0,1] op_sel_hi:[1,0,0] neg_lo:[0,0,1] neg_hi:[0,0,1]
	v_accvgpr_write_b32 a60, v0
	v_add_u32_e32 v0, 0xa50, v255
	v_mov_b32_e32 v254, v252
	v_mov_b32_e32 v255, v251
	v_pk_add_f32 v[244:245], v[254:255], v[244:245]
	v_pk_mul_f32 v[254:255], v[30:31], s[22:23] op_sel_hi:[1,0]
	v_pk_mul_f32 v[36:37], v[36:37], s[22:23] op_sel_hi:[1,0]
	v_pk_fma_f32 v[40:41], v[118:119], s[20:21], v[254:255] op_sel:[0,0,1] op_sel_hi:[1,0,0]
	v_pk_fma_f32 v[254:255], v[118:119], s[20:21], v[254:255] op_sel:[0,0,1] op_sel_hi:[1,0,0] neg_lo:[0,0,1] neg_hi:[0,0,1]
	v_mov_b32_e32 v120, v40
	v_mov_b32_e32 v121, v255
	v_pk_add_f32 v[42:43], v[120:121], v[244:245]
	v_pk_mul_f32 v[120:121], v[28:29], s[26:27] op_sel_hi:[1,0]
	v_pk_mul_f32 v[26:27], v[26:27], s[24:25] op_sel_hi:[1,0]
	v_pk_fma_f32 v[124:125], v[126:127], s[2:3], v[120:121] op_sel:[0,0,1] op_sel_hi:[1,0,0]
	v_pk_fma_f32 v[120:121], v[126:127], s[2:3], v[120:121] op_sel:[0,0,1] op_sel_hi:[1,0,0] neg_lo:[0,0,1] neg_hi:[0,0,1]
	v_mov_b32_e32 v244, v124
	v_mov_b32_e32 v245, v121
	v_pk_add_f32 v[42:43], v[244:245], v[42:43]
	v_pk_fma_f32 v[244:245], v[102:103], s[20:21], v[36:37] op_sel:[0,0,1] op_sel_hi:[1,0,0]
	v_pk_fma_f32 v[36:37], v[102:103], s[20:21], v[36:37] op_sel:[0,0,1] op_sel_hi:[1,0,0] neg_lo:[0,0,1] neg_hi:[0,0,1]
	v_accvgpr_write_b32 a45, v0
	v_mov_b32_e32 v102, v244
	v_mov_b32_e32 v103, v37
	v_pk_fma_f32 v[0:1], v[108:109], s[0:1], v[26:27] op_sel:[0,0,1] op_sel_hi:[1,0,0]
	v_pk_fma_f32 v[2:3], v[108:109], s[0:1], v[26:27] op_sel:[0,0,1] op_sel_hi:[1,0,0] neg_lo:[0,0,1] neg_hi:[0,0,1]
	v_pk_add_f32 v[102:103], v[100:101], v[102:103]
	v_mov_b32_e32 v26, v0
	v_mov_b32_e32 v27, v3
	v_pk_mul_f32 v[22:23], v[22:23], s[18:19] op_sel_hi:[1,0]
	v_pk_add_f32 v[26:27], v[26:27], v[102:103]
	v_pk_fma_f32 v[102:103], v[114:115], s[16:17], v[22:23] op_sel:[0,0,1] op_sel_hi:[1,0,0]
	v_pk_fma_f32 v[22:23], v[114:115], s[16:17], v[22:23] op_sel:[0,0,1] op_sel_hi:[1,0,0] neg_lo:[0,0,1] neg_hi:[0,0,1]
	v_mov_b32_e32 v108, v102
	v_mov_b32_e32 v109, v23
	v_pk_mul_f32 v[30:31], v[30:31], s[26:27] op_sel_hi:[1,0]
	v_pk_add_f32 v[26:27], v[108:109], v[26:27]
	v_pk_fma_f32 v[108:109], v[118:119], s[2:3], v[30:31] op_sel:[0,0,1] op_sel_hi:[1,0,0]
	v_pk_fma_f32 v[30:31], v[118:119], s[2:3], v[30:31] op_sel:[0,0,1] op_sel_hi:[1,0,0] neg_lo:[0,0,1] neg_hi:[0,0,1]
	v_mov_b32_e32 v114, v108
	v_mov_b32_e32 v115, v31
	v_pk_mul_f32 v[28:29], v[28:29], s[10:11] op_sel_hi:[1,0]
	v_pk_add_f32 v[26:27], v[114:115], v[26:27]
	v_pk_fma_f32 v[114:115], v[126:127], s[8:9], v[28:29] op_sel:[0,0,1] op_sel_hi:[1,0,0]
	v_pk_fma_f32 v[28:29], v[126:127], s[8:9], v[28:29] op_sel:[0,0,1] op_sel_hi:[1,0,0] neg_lo:[0,0,1] neg_hi:[0,0,1]
	v_mov_b32_e32 v118, v114
	v_mov_b32_e32 v119, v29
	v_pk_add_f32 v[26:27], v[118:119], v[26:27]
	v_mov_b32_e32 v37, v245
	ds_write2_b64 v104, v[42:43], v[26:27] offset0:24 offset1:30
	v_pk_add_f32 v[26:27], v[100:101], v[36:37]
	v_mov_b32_e32 v3, v1
	v_mov_b32_e32 v131, v155
	v_pk_add_f32 v[0:1], v[2:3], v[26:27]
	v_pk_add_f32 v[2:3], v[100:101], v[130:131]
	v_mov_b32_e32 v247, v249
	v_mov_b32_e32 v23, v103
	v_pk_add_f32 v[2:3], v[246:247], v[2:3]
	v_mov_b32_e32 v251, v253
	v_pk_add_f32 v[0:1], v[22:23], v[0:1]
	;; [unrolled: 2-line block ×6, first 2 shown]
	v_pk_add_f32 v[2:3], v[120:121], v[2:3]
	v_mov_b32_e32 v151, v153
	v_mov_b32_e32 v21, v107
	ds_write2_b64 v104, v[0:1], v[2:3] offset0:36 offset1:42
	v_pk_add_f32 v[0:1], v[100:101], v[150:151]
	v_mov_b32_e32 v157, v159
	v_pk_add_f32 v[2:3], v[100:101], v[20:21]
	v_mov_b32_e32 v133, v137
	;; [unrolled: 2-line block ×8, first 2 shown]
	v_pk_add_f32 v[0:1], v[240:241], v[0:1]
	v_pk_add_f32 v[2:3], v[146:147], v[2:3]
	v_mov_b32_e32 v39, v105
	ds_write2_b64 v104, v[0:1], v[2:3] offset0:48 offset1:54
	v_pk_add_f32 v[0:1], v[100:101], v[38:39]
	v_mov_b32_e32 v111, v113
	v_pk_add_f32 v[0:1], v[110:111], v[0:1]
	v_mov_b32_e32 v25, v117
	;; [unrolled: 2-line block ×4, first 2 shown]
	v_mov_b32_e32 v230, v174
	v_mov_b32_e32 v231, v174
	;; [unrolled: 1-line block ×84, first 2 shown]
	v_pk_add_f32 v[0:1], v[34:35], v[0:1]
	ds_write_b64 v104, v[0:1] offset:480
	s_and_saveexec_b64 s[36:37], vcc
	s_cbranch_execz .LBB0_11
; %bb.10:
	v_accvgpr_read_b32 v42, a46
	v_accvgpr_read_b32 v36, a39
	;; [unrolled: 1-line block ×3, first 2 shown]
	v_mul_u32_u24_e32 v36, 0x42, v36
	v_accvgpr_read_b32 v37, a44
	v_pk_mul_f32 v[0:1], v[18:19], v[42:43] op_sel:[0,1]
	v_accvgpr_read_b32 v103, a51
	v_mov_b32_e32 v22, v233
	v_add_u32_sdwa v36, v36, v37 dst_sel:DWORD dst_unused:UNUSED_PAD src0_sel:DWORD src1_sel:BYTE_0
	v_accvgpr_read_b32 v37, a38
	v_accvgpr_read_b32 v102, a50
	v_pk_mul_f32 v[22:23], v[14:15], v[22:23] op_sel_hi:[1,0]
	v_lshl_add_u32 v154, v36, 3, v37
	v_pk_fma_f32 v[36:37], v[18:19], v[42:43], v[0:1] op_sel:[0,0,1] op_sel_hi:[1,1,0]
	v_pk_fma_f32 v[0:1], v[18:19], v[42:43], v[0:1] op_sel:[0,0,1] op_sel_hi:[1,0,0] neg_lo:[1,0,0] neg_hi:[1,0,0]
	v_pk_mul_f32 v[20:21], v[16:17], v[102:103] op_sel:[0,1]
	v_mov_b32_e32 v37, v1
	v_pk_fma_f32 v[0:1], v[14:15], v[214:215], v[22:23] op_sel:[1,0,0] op_sel_hi:[0,1,1]
	v_pk_fma_f32 v[14:15], v[14:15], v[214:215], v[22:23] op_sel:[1,0,0] op_sel_hi:[0,0,1] neg_lo:[0,0,1] neg_hi:[0,0,1]
	v_accvgpr_read_b32 v101, a49
	v_accvgpr_read_b32 v100, a48
	v_pk_mul_f32 v[26:27], v[8:9], v[98:99] op_sel:[0,1]
	v_mov_b32_e32 v1, v15
	v_pk_fma_f32 v[14:15], v[16:17], v[102:103], v[20:21] op_sel:[0,0,1] op_sel_hi:[1,1,0]
	v_pk_fma_f32 v[16:17], v[16:17], v[102:103], v[20:21] op_sel:[0,0,1] op_sel_hi:[1,0,0] neg_lo:[1,0,0] neg_hi:[1,0,0]
	v_pk_mul_f32 v[24:25], v[6:7], v[100:101] op_sel:[0,1]
	v_mov_b32_e32 v15, v17
	v_pk_fma_f32 v[16:17], v[8:9], v[98:99], v[26:27] op_sel:[0,0,1] op_sel_hi:[1,1,0]
	v_pk_fma_f32 v[8:9], v[8:9], v[98:99], v[26:27] op_sel:[0,0,1] op_sel_hi:[1,0,0] neg_lo:[1,0,0] neg_hi:[1,0,0]
	v_pk_mul_f32 v[30:31], v[10:11], v[92:93] op_sel:[0,1]
	v_accvgpr_read_b32 v38, a40
	v_mov_b32_e32 v17, v9
	v_pk_fma_f32 v[8:9], v[6:7], v[100:101], v[24:25] op_sel:[0,0,1] op_sel_hi:[1,1,0]
	v_pk_fma_f32 v[6:7], v[6:7], v[100:101], v[24:25] op_sel:[0,0,1] op_sel_hi:[1,0,0] neg_lo:[1,0,0] neg_hi:[1,0,0]
	v_pk_mul_f32 v[28:29], v[4:5], v[46:47] op_sel:[0,1]
	v_accvgpr_read_b32 v39, a41
	v_mov_b32_e32 v9, v7
	v_pk_fma_f32 v[6:7], v[10:11], v[92:93], v[30:31] op_sel:[0,0,1] op_sel_hi:[1,1,0]
	v_pk_fma_f32 v[10:11], v[10:11], v[92:93], v[30:31] op_sel:[0,0,1] op_sel_hi:[1,0,0] neg_lo:[1,0,0] neg_hi:[1,0,0]
	v_accvgpr_read_b32 v40, a42
	v_accvgpr_read_b32 v41, a43
	v_pk_mul_f32 v[34:35], v[38:39], v[94:95] op_sel:[0,1]
	v_mov_b32_e32 v7, v11
	v_pk_fma_f32 v[10:11], v[4:5], v[46:47], v[28:29] op_sel:[0,0,1] op_sel_hi:[1,1,0]
	v_pk_fma_f32 v[4:5], v[4:5], v[46:47], v[28:29] op_sel:[0,0,1] op_sel_hi:[1,0,0] neg_lo:[1,0,0] neg_hi:[1,0,0]
	v_pk_mul_f32 v[32:33], v[40:41], v[44:45] op_sel:[0,1]
	v_mov_b32_e32 v11, v5
	v_pk_fma_f32 v[4:5], v[38:39], v[94:95], v[34:35] op_sel:[0,0,1] op_sel_hi:[1,1,0]
	v_pk_fma_f32 v[18:19], v[38:39], v[94:95], v[34:35] op_sel:[0,0,1] op_sel_hi:[1,0,0] neg_lo:[1,0,0] neg_hi:[1,0,0]
	v_pk_mul_f32 v[2:3], v[12:13], v[232:233] op_sel_hi:[1,0]
	v_mov_b32_e32 v5, v19
	v_pk_fma_f32 v[18:19], v[40:41], v[44:45], v[32:33] op_sel:[0,0,1] op_sel_hi:[1,1,0]
	v_pk_fma_f32 v[20:21], v[40:41], v[44:45], v[32:33] op_sel:[0,0,1] op_sel_hi:[1,0,0] neg_lo:[1,0,0] neg_hi:[1,0,0]
	v_pk_add_f32 v[24:25], v[0:1], v[14:15] neg_lo:[0,1] neg_hi:[0,1]
	v_mov_b32_e32 v19, v21
	v_pk_fma_f32 v[20:21], v[12:13], v[214:215], v[2:3] op_sel:[0,1,1] op_sel_hi:[1,1,0]
	v_pk_fma_f32 v[2:3], v[12:13], v[214:215], v[2:3] op_sel:[0,1,1] op_sel_hi:[1,1,0] neg_lo:[1,0,0] neg_hi:[1,0,0]
	v_pk_add_f32 v[22:23], v[14:15], v[0:1]
	v_mov_b32_e32 v21, v3
	v_pk_add_f32 v[12:13], v[20:21], v[36:37] neg_lo:[0,1] neg_hi:[0,1]
	v_pk_add_f32 v[2:3], v[36:37], v[20:21]
	v_pk_mul_f32 v[40:41], v[12:13], s[14:15] op_sel_hi:[1,0]
	v_pk_mul_f32 v[46:47], v[24:25], s[30:31] op_sel_hi:[1,0]
	v_pk_fma_f32 v[42:43], v[2:3], s[0:1], v[40:41] op_sel:[0,0,1] op_sel_hi:[1,0,0]
	v_pk_fma_f32 v[40:41], v[2:3], s[0:1], v[40:41] op_sel:[0,0,1] op_sel_hi:[1,0,0] neg_lo:[0,0,1] neg_hi:[0,0,1]
	v_mov_b32_e32 v44, v42
	v_mov_b32_e32 v45, v41
	v_pk_fma_f32 v[92:93], v[22:23], s[2:3], v[46:47] op_sel:[0,0,1] op_sel_hi:[1,0,0]
	v_pk_fma_f32 v[46:47], v[22:23], s[2:3], v[46:47] op_sel:[0,0,1] op_sel_hi:[1,0,0] neg_lo:[0,0,1] neg_hi:[0,0,1]
	v_pk_add_f32 v[28:29], v[16:17], v[8:9] neg_lo:[0,1] neg_hi:[0,1]
	v_pk_add_f32 v[44:45], v[90:91], v[44:45]
	v_mov_b32_e32 v94, v92
	v_mov_b32_e32 v95, v47
	v_pk_add_f32 v[26:27], v[8:9], v[16:17]
	v_pk_add_f32 v[44:45], v[94:95], v[44:45]
	v_pk_mul_f32 v[94:95], v[28:29], s[10:11] op_sel_hi:[1,0]
	v_pk_add_f32 v[20:21], v[90:91], v[20:21]
	v_pk_fma_f32 v[98:99], v[26:27], s[8:9], v[94:95] op_sel:[0,0,1] op_sel_hi:[1,0,0]
	v_pk_fma_f32 v[94:95], v[26:27], s[8:9], v[94:95] op_sel:[0,0,1] op_sel_hi:[1,0,0] neg_lo:[0,0,1] neg_hi:[0,0,1]
	v_pk_add_f32 v[0:1], v[0:1], v[20:21]
	v_pk_add_f32 v[32:33], v[6:7], v[10:11] neg_lo:[0,1] neg_hi:[0,1]
	v_mov_b32_e32 v100, v98
	v_mov_b32_e32 v101, v95
	v_pk_add_f32 v[0:1], v[16:17], v[0:1]
	v_pk_add_f32 v[30:31], v[10:11], v[6:7]
	;; [unrolled: 1-line block ×3, first 2 shown]
	v_pk_mul_f32 v[100:101], v[32:33], s[18:19] op_sel_hi:[1,0]
	v_pk_add_f32 v[0:1], v[6:7], v[0:1]
	v_pk_fma_f32 v[102:103], v[30:31], s[16:17], v[100:101] op_sel:[0,0,1] op_sel_hi:[1,0,0]
	v_pk_fma_f32 v[100:101], v[30:31], s[16:17], v[100:101] op_sel:[0,0,1] op_sel_hi:[1,0,0] neg_lo:[0,0,1] neg_hi:[0,0,1]
	v_pk_add_f32 v[0:1], v[4:5], v[0:1]
	v_pk_add_f32 v[38:39], v[4:5], v[18:19] neg_lo:[0,1] neg_hi:[0,1]
	v_mov_b32_e32 v104, v102
	v_mov_b32_e32 v105, v101
	v_pk_add_f32 v[0:1], v[18:19], v[0:1]
	v_pk_add_f32 v[34:35], v[18:19], v[4:5]
	;; [unrolled: 1-line block ×3, first 2 shown]
	v_pk_mul_f32 v[104:105], v[38:39], s[22:23] op_sel_hi:[1,0]
	v_pk_add_f32 v[0:1], v[10:11], v[0:1]
	v_pk_fma_f32 v[106:107], v[34:35], s[20:21], v[104:105] op_sel:[0,0,1] op_sel_hi:[1,0,0]
	v_pk_fma_f32 v[104:105], v[34:35], s[20:21], v[104:105] op_sel:[0,0,1] op_sel_hi:[1,0,0] neg_lo:[0,0,1] neg_hi:[0,0,1]
	v_pk_add_f32 v[0:1], v[8:9], v[0:1]
	v_mov_b32_e32 v108, v106
	v_mov_b32_e32 v109, v105
	v_pk_add_f32 v[0:1], v[14:15], v[0:1]
	v_pk_add_f32 v[44:45], v[108:109], v[44:45]
	;; [unrolled: 1-line block ×3, first 2 shown]
	ds_write2_b64 v154, v[0:1], v[44:45] offset1:6
	v_pk_mul_f32 v[0:1], v[12:13], s[30:31] op_sel_hi:[1,0]
	v_pk_mul_f32 v[8:9], v[24:25], s[18:19] op_sel_hi:[1,0]
	v_pk_fma_f32 v[4:5], v[2:3], s[2:3], v[0:1] op_sel:[0,0,1] op_sel_hi:[1,0,0]
	v_pk_fma_f32 v[0:1], v[2:3], s[2:3], v[0:1] op_sel:[0,0,1] op_sel_hi:[1,0,0] neg_lo:[0,0,1] neg_hi:[0,0,1]
	v_mov_b32_e32 v6, v4
	v_mov_b32_e32 v7, v1
	v_pk_fma_f32 v[10:11], v[22:23], s[16:17], v[8:9] op_sel:[0,0,1] op_sel_hi:[1,0,0]
	v_pk_fma_f32 v[8:9], v[22:23], s[16:17], v[8:9] op_sel:[0,0,1] op_sel_hi:[1,0,0] neg_lo:[0,0,1] neg_hi:[0,0,1]
	v_pk_add_f32 v[6:7], v[90:91], v[6:7]
	v_mov_b32_e32 v14, v10
	v_mov_b32_e32 v15, v9
	v_pk_add_f32 v[6:7], v[14:15], v[6:7]
	v_pk_mul_f32 v[14:15], v[28:29], s[34:35] op_sel_hi:[1,0]
	v_pk_mul_f32 v[114:115], v[24:25], s[34:35] op_sel_hi:[1,0]
	v_pk_fma_f32 v[16:17], v[26:27], s[20:21], v[14:15] op_sel:[0,0,1] op_sel_hi:[1,0,0]
	v_pk_fma_f32 v[14:15], v[26:27], s[20:21], v[14:15] op_sel:[0,0,1] op_sel_hi:[1,0,0] neg_lo:[0,0,1] neg_hi:[0,0,1]
	v_mov_b32_e32 v18, v16
	v_mov_b32_e32 v19, v15
	v_pk_add_f32 v[6:7], v[18:19], v[6:7]
	v_pk_mul_f32 v[18:19], v[32:33], s[28:29] op_sel_hi:[1,0]
	v_pk_fma_f32 v[116:117], v[22:23], s[20:21], v[114:115] op_sel:[0,0,1] op_sel_hi:[1,0,0]
	v_pk_fma_f32 v[20:21], v[30:31], s[8:9], v[18:19] op_sel:[0,0,1] op_sel_hi:[1,0,0]
	v_pk_fma_f32 v[18:19], v[30:31], s[8:9], v[18:19] op_sel:[0,0,1] op_sel_hi:[1,0,0] neg_lo:[0,0,1] neg_hi:[0,0,1]
	v_mov_b32_e32 v36, v20
	v_mov_b32_e32 v37, v19
	v_pk_add_f32 v[6:7], v[36:37], v[6:7]
	v_pk_mul_f32 v[36:37], v[38:39], s[24:25] op_sel_hi:[1,0]
	v_pk_fma_f32 v[114:115], v[22:23], s[20:21], v[114:115] op_sel:[0,0,1] op_sel_hi:[1,0,0] neg_lo:[0,0,1] neg_hi:[0,0,1]
	v_pk_fma_f32 v[44:45], v[34:35], s[0:1], v[36:37] op_sel:[0,0,1] op_sel_hi:[1,0,0]
	v_pk_fma_f32 v[36:37], v[34:35], s[0:1], v[36:37] op_sel:[0,0,1] op_sel_hi:[1,0,0] neg_lo:[0,0,1] neg_hi:[0,0,1]
	v_mov_b32_e32 v108, v44
	v_mov_b32_e32 v109, v37
	v_pk_add_f32 v[6:7], v[108:109], v[6:7]
	v_pk_mul_f32 v[108:109], v[12:13], s[10:11] op_sel_hi:[1,0]
	v_mov_b32_e32 v118, v116
	v_pk_fma_f32 v[110:111], v[2:3], s[8:9], v[108:109] op_sel:[0,0,1] op_sel_hi:[1,0,0]
	v_pk_fma_f32 v[108:109], v[2:3], s[8:9], v[108:109] op_sel:[0,0,1] op_sel_hi:[1,0,0] neg_lo:[0,0,1] neg_hi:[0,0,1]
	v_mov_b32_e32 v112, v110
	v_mov_b32_e32 v113, v109
	v_pk_add_f32 v[112:113], v[90:91], v[112:113]
	v_mov_b32_e32 v119, v115
	v_pk_add_f32 v[112:113], v[118:119], v[112:113]
	v_pk_mul_f32 v[118:119], v[28:29], s[26:27] op_sel_hi:[1,0]
	v_pk_mul_f32 v[132:133], v[24:25], s[28:29] op_sel_hi:[1,0]
	v_pk_fma_f32 v[120:121], v[26:27], s[2:3], v[118:119] op_sel:[0,0,1] op_sel_hi:[1,0,0]
	v_pk_fma_f32 v[118:119], v[26:27], s[2:3], v[118:119] op_sel:[0,0,1] op_sel_hi:[1,0,0] neg_lo:[0,0,1] neg_hi:[0,0,1]
	v_mov_b32_e32 v122, v120
	v_mov_b32_e32 v123, v119
	v_pk_add_f32 v[112:113], v[122:123], v[112:113]
	v_pk_mul_f32 v[122:123], v[32:33], s[14:15] op_sel_hi:[1,0]
	v_pk_fma_f32 v[136:137], v[22:23], s[8:9], v[132:133] op_sel:[0,0,1] op_sel_hi:[1,0,0]
	v_pk_fma_f32 v[124:125], v[30:31], s[0:1], v[122:123] op_sel:[0,0,1] op_sel_hi:[1,0,0]
	v_pk_fma_f32 v[122:123], v[30:31], s[0:1], v[122:123] op_sel:[0,0,1] op_sel_hi:[1,0,0] neg_lo:[0,0,1] neg_hi:[0,0,1]
	v_mov_b32_e32 v126, v124
	v_mov_b32_e32 v127, v123
	v_pk_add_f32 v[112:113], v[126:127], v[112:113]
	v_pk_mul_f32 v[126:127], v[38:39], s[18:19] op_sel_hi:[1,0]
	v_pk_fma_f32 v[132:133], v[22:23], s[8:9], v[132:133] op_sel:[0,0,1] op_sel_hi:[1,0,0] neg_lo:[0,0,1] neg_hi:[0,0,1]
	v_pk_fma_f32 v[128:129], v[34:35], s[16:17], v[126:127] op_sel:[0,0,1] op_sel_hi:[1,0,0]
	v_pk_fma_f32 v[126:127], v[34:35], s[16:17], v[126:127] op_sel:[0,0,1] op_sel_hi:[1,0,0] neg_lo:[0,0,1] neg_hi:[0,0,1]
	v_mov_b32_e32 v130, v128
	v_mov_b32_e32 v131, v127
	v_pk_add_f32 v[112:113], v[130:131], v[112:113]
	ds_write2_b64 v154, v[6:7], v[112:113] offset0:12 offset1:18
	v_pk_mul_f32 v[6:7], v[12:13], s[18:19] op_sel_hi:[1,0]
	v_mov_b32_e32 v138, v136
	v_pk_fma_f32 v[112:113], v[2:3], s[16:17], v[6:7] op_sel:[0,0,1] op_sel_hi:[1,0,0]
	v_pk_fma_f32 v[6:7], v[2:3], s[16:17], v[6:7] op_sel:[0,0,1] op_sel_hi:[1,0,0] neg_lo:[0,0,1] neg_hi:[0,0,1]
	v_mov_b32_e32 v130, v112
	v_mov_b32_e32 v131, v7
	v_pk_add_f32 v[130:131], v[90:91], v[130:131]
	v_mov_b32_e32 v139, v133
	v_pk_add_f32 v[130:131], v[138:139], v[130:131]
	v_pk_mul_f32 v[138:139], v[28:29], s[14:15] op_sel_hi:[1,0]
	v_pk_mul_f32 v[12:13], v[12:13], s[22:23] op_sel_hi:[1,0]
	v_pk_fma_f32 v[140:141], v[26:27], s[0:1], v[138:139] op_sel:[0,0,1] op_sel_hi:[1,0,0]
	v_pk_fma_f32 v[138:139], v[26:27], s[0:1], v[138:139] op_sel:[0,0,1] op_sel_hi:[1,0,0] neg_lo:[0,0,1] neg_hi:[0,0,1]
	v_mov_b32_e32 v142, v140
	v_mov_b32_e32 v143, v139
	v_pk_add_f32 v[130:131], v[142:143], v[130:131]
	v_pk_mul_f32 v[142:143], v[32:33], s[22:23] op_sel_hi:[1,0]
	v_pk_mul_f32 v[24:25], v[24:25], s[24:25] op_sel_hi:[1,0]
	v_pk_fma_f32 v[144:145], v[30:31], s[20:21], v[142:143] op_sel:[0,0,1] op_sel_hi:[1,0,0]
	v_pk_fma_f32 v[142:143], v[30:31], s[20:21], v[142:143] op_sel:[0,0,1] op_sel_hi:[1,0,0] neg_lo:[0,0,1] neg_hi:[0,0,1]
	v_mov_b32_e32 v146, v144
	v_mov_b32_e32 v147, v143
	v_pk_add_f32 v[130:131], v[146:147], v[130:131]
	v_pk_mul_f32 v[146:147], v[38:39], s[26:27] op_sel_hi:[1,0]
	v_pk_fma_f32 v[152:153], v[22:23], s[0:1], v[24:25] op_sel:[0,0,1] op_sel_hi:[1,0,0]
	v_pk_fma_f32 v[148:149], v[34:35], s[2:3], v[146:147] op_sel:[0,0,1] op_sel_hi:[1,0,0]
	v_pk_fma_f32 v[146:147], v[34:35], s[2:3], v[146:147] op_sel:[0,0,1] op_sel_hi:[1,0,0] neg_lo:[0,0,1] neg_hi:[0,0,1]
	v_mov_b32_e32 v150, v148
	v_mov_b32_e32 v151, v147
	v_pk_add_f32 v[130:131], v[150:151], v[130:131]
	v_pk_fma_f32 v[150:151], v[2:3], s[20:21], v[12:13] op_sel:[0,0,1] op_sel_hi:[1,0,0]
	v_pk_fma_f32 v[2:3], v[2:3], s[20:21], v[12:13] op_sel:[0,0,1] op_sel_hi:[1,0,0] neg_lo:[0,0,1] neg_hi:[0,0,1]
	v_mov_b32_e32 v12, v150
	v_mov_b32_e32 v13, v3
	v_pk_fma_f32 v[22:23], v[22:23], s[0:1], v[24:25] op_sel:[0,0,1] op_sel_hi:[1,0,0] neg_lo:[0,0,1] neg_hi:[0,0,1]
	v_pk_add_f32 v[12:13], v[90:91], v[12:13]
	v_mov_b32_e32 v24, v152
	v_mov_b32_e32 v25, v23
	v_pk_add_f32 v[12:13], v[24:25], v[12:13]
	v_pk_mul_f32 v[24:25], v[28:29], s[18:19] op_sel_hi:[1,0]
	v_mov_b32_e32 v3, v151
	v_pk_fma_f32 v[28:29], v[26:27], s[16:17], v[24:25] op_sel:[0,0,1] op_sel_hi:[1,0,0]
	v_pk_fma_f32 v[24:25], v[26:27], s[16:17], v[24:25] op_sel:[0,0,1] op_sel_hi:[1,0,0] neg_lo:[0,0,1] neg_hi:[0,0,1]
	v_mov_b32_e32 v26, v28
	v_mov_b32_e32 v27, v25
	v_pk_add_f32 v[12:13], v[26:27], v[12:13]
	v_pk_mul_f32 v[26:27], v[32:33], s[26:27] op_sel_hi:[1,0]
	v_mov_b32_e32 v7, v113
	v_pk_fma_f32 v[32:33], v[30:31], s[2:3], v[26:27] op_sel:[0,0,1] op_sel_hi:[1,0,0]
	v_pk_fma_f32 v[26:27], v[30:31], s[2:3], v[26:27] op_sel:[0,0,1] op_sel_hi:[1,0,0] neg_lo:[0,0,1] neg_hi:[0,0,1]
	v_mov_b32_e32 v30, v32
	v_mov_b32_e32 v31, v27
	v_pk_add_f32 v[2:3], v[90:91], v[2:3]
	v_mov_b32_e32 v23, v153
	v_pk_add_f32 v[6:7], v[90:91], v[6:7]
	v_mov_b32_e32 v133, v137
	v_pk_add_f32 v[12:13], v[30:31], v[12:13]
	v_pk_mul_f32 v[30:31], v[38:39], s[10:11] op_sel_hi:[1,0]
	v_pk_add_f32 v[2:3], v[22:23], v[2:3]
	v_mov_b32_e32 v25, v29
	v_pk_add_f32 v[6:7], v[132:133], v[6:7]
	v_mov_b32_e32 v139, v141
	v_pk_fma_f32 v[38:39], v[34:35], s[8:9], v[30:31] op_sel:[0,0,1] op_sel_hi:[1,0,0]
	v_pk_fma_f32 v[30:31], v[34:35], s[8:9], v[30:31] op_sel:[0,0,1] op_sel_hi:[1,0,0] neg_lo:[0,0,1] neg_hi:[0,0,1]
	v_pk_add_f32 v[2:3], v[24:25], v[2:3]
	v_mov_b32_e32 v27, v33
	v_pk_add_f32 v[6:7], v[138:139], v[6:7]
	v_mov_b32_e32 v143, v145
	v_mov_b32_e32 v35, v31
	v_pk_add_f32 v[2:3], v[26:27], v[2:3]
	v_mov_b32_e32 v31, v39
	v_pk_add_f32 v[6:7], v[142:143], v[6:7]
	v_mov_b32_e32 v147, v149
	v_pk_add_f32 v[2:3], v[30:31], v[2:3]
	v_pk_add_f32 v[6:7], v[146:147], v[6:7]
	v_mov_b32_e32 v109, v111
	v_mov_b32_e32 v1, v5
	ds_write2_b64 v154, v[2:3], v[6:7] offset0:36 offset1:42
	v_pk_add_f32 v[2:3], v[90:91], v[108:109]
	v_mov_b32_e32 v115, v117
	v_pk_add_f32 v[0:1], v[90:91], v[0:1]
	v_mov_b32_e32 v9, v11
	;; [unrolled: 2-line block ×8, first 2 shown]
	v_pk_add_f32 v[2:3], v[126:127], v[2:3]
	v_pk_add_f32 v[0:1], v[36:37], v[0:1]
	v_mov_b32_e32 v41, v43
	ds_write2_b64 v154, v[2:3], v[0:1] offset0:48 offset1:54
	v_pk_add_f32 v[0:1], v[90:91], v[40:41]
	v_mov_b32_e32 v47, v93
	v_pk_add_f32 v[0:1], v[46:47], v[0:1]
	v_mov_b32_e32 v95, v99
	v_pk_add_f32 v[0:1], v[94:95], v[0:1]
	v_mov_b32_e32 v101, v103
	v_mov_b32_e32 v34, v38
	v_pk_add_f32 v[0:1], v[100:101], v[0:1]
	v_mov_b32_e32 v105, v107
	v_pk_add_f32 v[12:13], v[34:35], v[12:13]
	v_pk_add_f32 v[0:1], v[104:105], v[0:1]
	ds_write2_b64 v154, v[130:131], v[12:13] offset0:24 offset1:30
	ds_write_b64 v154, v[0:1] offset:480
.LBB0_11:
	s_or_b64 exec, exec, s[36:37]
	v_add_u32_e32 v7, 0x1000, v135
	s_waitcnt lgkmcnt(0)
	s_barrier
	ds_read2_b64 v[0:3], v7 offset0:16 offset1:82
	ds_read2_b64 v[8:11], v135 offset1:66
	ds_read2_b64 v[12:15], v7 offset0:148 offset1:214
	v_add_u32_e32 v6, 0x2000, v135
	s_mov_b32 s0, 0x3f5db3d7
	s_waitcnt lgkmcnt(2)
	v_pk_mul_f32 v[4:5], v[174:175], v[2:3]
	s_nop 0
	v_pk_fma_f32 v[16:17], v[230:231], v[2:3], v[4:5] op_sel:[0,0,1] op_sel_hi:[1,1,0]
	v_pk_fma_f32 v[2:3], v[230:231], v[2:3], v[4:5] op_sel:[0,0,1] op_sel_hi:[1,1,0] neg_lo:[0,0,1] neg_hi:[0,0,1]
	s_nop 0
	v_mov_b32_e32 v17, v3
	ds_read2_b64 v[2:5], v6 offset0:32 offset1:98
	s_waitcnt lgkmcnt(2)
	v_pk_add_f32 v[28:29], v[8:9], v[16:17] neg_lo:[0,1] neg_hi:[0,1]
	s_nop 0
	v_pk_fma_f32 v[30:31], v[8:9], 2.0, v[28:29] op_sel_hi:[1,0,1] neg_lo:[0,0,1] neg_hi:[0,0,1]
	s_waitcnt lgkmcnt(1)
	v_pk_mul_f32 v[8:9], v[174:175], v[12:13]
	s_nop 0
	v_pk_fma_f32 v[16:17], v[230:231], v[12:13], v[8:9] op_sel:[0,0,1] op_sel_hi:[1,1,0]
	v_pk_fma_f32 v[8:9], v[230:231], v[12:13], v[8:9] op_sel:[0,0,1] op_sel_hi:[1,1,0] neg_lo:[0,0,1] neg_hi:[0,0,1]
	s_nop 0
	v_mov_b32_e32 v17, v9
	s_waitcnt lgkmcnt(0)
	v_pk_mul_f32 v[8:9], v[176:177], v[4:5]
	v_pk_add_f32 v[12:13], v[10:11], v[16:17] neg_lo:[0,1] neg_hi:[0,1]
	v_pk_fma_f32 v[16:17], v[228:229], v[4:5], v[8:9] op_sel:[0,0,1] op_sel_hi:[1,1,0]
	v_pk_fma_f32 v[4:5], v[228:229], v[4:5], v[8:9] op_sel:[0,0,1] op_sel_hi:[1,1,0] neg_lo:[0,0,1] neg_hi:[0,0,1]
	v_add_u32_e32 v9, 0x1800, v135
	ds_read2_b64 v[20:23], v9 offset0:156 offset1:222
	v_mov_b32_e32 v17, v5
	v_add_u32_e32 v8, 0x800, v135
	v_pk_add_f32 v[32:33], v[0:1], v[16:17] neg_lo:[0,1] neg_hi:[0,1]
	ds_read2_b64 v[16:19], v8 offset0:140 offset1:206
	v_pk_mul_f32 v[4:5], v[172:173], v[2:3]
	s_waitcnt lgkmcnt(1)
	v_pk_mul_f32 v[26:27], v[170:171], v[20:21]
	v_pk_fma_f32 v[24:25], v[226:227], v[2:3], v[4:5] op_sel:[0,0,1] op_sel_hi:[1,1,0]
	v_pk_fma_f32 v[2:3], v[226:227], v[2:3], v[4:5] op_sel:[0,0,1] op_sel_hi:[1,1,0] neg_lo:[0,0,1] neg_hi:[0,0,1]
	v_pk_fma_f32 v[38:39], v[222:223], v[20:21], v[26:27] op_sel:[0,0,1] op_sel_hi:[1,1,0]
	v_mov_b32_e32 v25, v3
	v_pk_mul_f32 v[2:3], v[166:167], v[22:23]
	s_waitcnt lgkmcnt(0)
	v_pk_add_f32 v[34:35], v[18:19], v[24:25] neg_lo:[0,1] neg_hi:[0,1]
	v_pk_fma_f32 v[4:5], v[224:225], v[22:23], v[2:3] op_sel:[0,0,1] op_sel_hi:[1,1,0]
	v_pk_fma_f32 v[2:3], v[224:225], v[22:23], v[2:3] op_sel:[0,0,1] op_sel_hi:[1,1,0] neg_lo:[0,0,1] neg_hi:[0,0,1]
	ds_read2_b64 v[22:25], v9 offset0:24 offset1:90
	v_mov_b32_e32 v5, v3
	v_pk_add_f32 v[36:37], v[16:17], v[4:5] neg_lo:[0,1] neg_hi:[0,1]
	ds_read2_b64 v[2:5], v8 offset0:8 offset1:74
	v_pk_fma_f32 v[20:21], v[222:223], v[20:21], v[26:27] op_sel:[0,0,1] op_sel_hi:[1,1,0] neg_lo:[0,0,1] neg_hi:[0,0,1]
	s_waitcnt lgkmcnt(1)
	v_pk_mul_f32 v[26:27], v[162:163], v[24:25]
	v_mov_b32_e32 v39, v21
	v_pk_mul_f32 v[40:41], v[164:165], v[22:23]
	s_waitcnt lgkmcnt(0)
	v_pk_add_f32 v[20:21], v[4:5], v[38:39] neg_lo:[0,1] neg_hi:[0,1]
	v_pk_fma_f32 v[38:39], v[220:221], v[24:25], v[26:27] op_sel:[0,0,1] op_sel_hi:[1,1,0]
	v_pk_fma_f32 v[24:25], v[220:221], v[24:25], v[26:27] op_sel:[0,0,1] op_sel_hi:[1,1,0] neg_lo:[0,0,1] neg_hi:[0,0,1]
	v_pk_fma_f32 v[42:43], v[218:219], v[22:23], v[40:41] op_sel:[0,0,1] op_sel_hi:[1,1,0]
	v_mov_b32_e32 v39, v25
	ds_read2_b64 v[24:27], v135 offset0:132 offset1:198
	v_pk_fma_f32 v[22:23], v[218:219], v[22:23], v[40:41] op_sel:[0,0,1] op_sel_hi:[1,1,0] neg_lo:[0,0,1] neg_hi:[0,0,1]
	v_pk_mul_f32 v[40:41], v[168:169], v[14:15]
	v_mov_b32_e32 v43, v23
	v_pk_fma_f32 v[10:11], v[10:11], 2.0, v[12:13] op_sel_hi:[1,0,1] neg_lo:[0,0,1] neg_hi:[0,0,1]
	s_waitcnt lgkmcnt(0)
	v_pk_add_f32 v[22:23], v[26:27], v[42:43] neg_lo:[0,1] neg_hi:[0,1]
	v_pk_fma_f32 v[42:43], v[216:217], v[14:15], v[40:41] op_sel:[0,0,1] op_sel_hi:[1,1,0]
	v_pk_fma_f32 v[14:15], v[216:217], v[14:15], v[40:41] op_sel:[0,0,1] op_sel_hi:[1,1,0] neg_lo:[0,0,1] neg_hi:[0,0,1]
	s_nop 0
	v_mov_b32_e32 v43, v15
	v_pk_add_f32 v[14:15], v[24:25], v[42:43] neg_lo:[0,1] neg_hi:[0,1]
	s_barrier
	ds_write2_b64 v135, v[10:11], v[12:13] offset0:132 offset1:198
	v_accvgpr_read_b32 v10, a56
	v_pk_fma_f32 v[24:25], v[24:25], 2.0, v[14:15] op_sel_hi:[1,0,1] neg_lo:[0,0,1] neg_hi:[0,0,1]
	v_add_u32_e32 v10, 0x800, v10
	v_accvgpr_read_b32 v12, a57
	ds_write2_b64 v135, v[30:31], v[28:29] offset1:66
	ds_write2_b64 v10, v[24:25], v[14:15] offset0:8 offset1:74
	v_pk_fma_f32 v[10:11], v[26:27], 2.0, v[22:23] op_sel_hi:[1,0,1] neg_lo:[0,0,1] neg_hi:[0,0,1]
	v_add_u32_e32 v12, 0x800, v12
	v_pk_add_f32 v[38:39], v[2:3], v[38:39] neg_lo:[0,1] neg_hi:[0,1]
	ds_write2_b64 v12, v[10:11], v[22:23] offset0:140 offset1:206
	v_accvgpr_read_b32 v10, a55
	v_pk_fma_f32 v[2:3], v[2:3], 2.0, v[38:39] op_sel_hi:[1,0,1] neg_lo:[0,0,1] neg_hi:[0,0,1]
	v_add_u32_e32 v10, 0x1000, v10
	ds_write2_b64 v10, v[2:3], v[38:39] offset0:16 offset1:82
	v_pk_fma_f32 v[2:3], v[4:5], 2.0, v[20:21] op_sel_hi:[1,0,1] neg_lo:[0,0,1] neg_hi:[0,0,1]
	v_accvgpr_read_b32 v4, a54
	v_add_u32_e32 v4, 0x1000, v4
	ds_write2_b64 v4, v[2:3], v[20:21] offset0:148 offset1:214
	v_accvgpr_read_b32 v4, a53
	v_pk_fma_f32 v[2:3], v[16:17], 2.0, v[36:37] op_sel_hi:[1,0,1] neg_lo:[0,0,1] neg_hi:[0,0,1]
	v_add_u32_e32 v4, 0x1800, v4
	ds_write2_b64 v4, v[2:3], v[36:37] offset0:24 offset1:90
	v_accvgpr_read_b32 v4, a52
	v_pk_fma_f32 v[2:3], v[18:19], 2.0, v[34:35] op_sel_hi:[1,0,1] neg_lo:[0,0,1] neg_hi:[0,0,1]
	;; [unrolled: 4-line block ×3, first 2 shown]
	v_add_u32_e32 v2, 0x2000, v2
	ds_write2_b64 v2, v[0:1], v[32:33] offset0:32 offset1:98
	s_waitcnt lgkmcnt(0)
	s_barrier
	ds_read2_b64 v[0:3], v8 offset0:140 offset1:206
	ds_read2_b64 v[10:13], v135 offset1:66
	ds_read2_b64 v[14:17], v9 offset0:24 offset1:90
	v_mov_b32_e32 v4, s12
	v_mov_b32_e32 v5, s13
	s_waitcnt lgkmcnt(2)
	v_pk_mul_f32 v[18:19], v[52:53], v[2:3]
	s_nop 0
	v_pk_fma_f32 v[20:21], v[204:205], v[2:3], v[18:19] op_sel:[0,0,1] op_sel_hi:[1,1,0]
	v_pk_fma_f32 v[2:3], v[204:205], v[2:3], v[18:19] op_sel:[0,0,1] op_sel_hi:[1,1,0] neg_lo:[0,0,1] neg_hi:[0,0,1]
	s_nop 0
	v_mov_b32_e32 v21, v3
	s_waitcnt lgkmcnt(0)
	v_pk_mul_f32 v[2:3], v[54:55], v[16:17]
	s_nop 0
	v_pk_fma_f32 v[18:19], v[202:203], v[16:17], v[2:3] op_sel:[0,0,1] op_sel_hi:[1,1,0]
	v_pk_fma_f32 v[2:3], v[202:203], v[16:17], v[2:3] op_sel:[0,0,1] op_sel_hi:[1,1,0] neg_lo:[0,0,1] neg_hi:[0,0,1]
	s_nop 0
	v_mov_b32_e32 v19, v3
	v_pk_add_f32 v[2:3], v[20:21], v[18:19]
	v_pk_add_f32 v[16:17], v[20:21], v[18:19] neg_lo:[0,1] neg_hi:[0,1]
	v_pk_fma_f32 v[2:3], v[2:3], 0.5, v[12:13] op_sel_hi:[1,0,1] neg_lo:[1,0,0] neg_hi:[1,0,0]
	v_pk_mul_f32 v[16:17], v[16:17], s[0:1] op_sel_hi:[1,0]
	s_nop 0
	v_pk_add_f32 v[22:23], v[2:3], v[16:17] op_sel:[0,1] op_sel_hi:[1,0] neg_lo:[0,1] neg_hi:[0,1]
	v_pk_add_f32 v[24:25], v[2:3], v[16:17] op_sel:[0,1] op_sel_hi:[1,0]
	v_pk_mul_f32 v[2:3], v[48:49], v[0:1]
	s_nop 0
	v_pk_fma_f32 v[16:17], v[200:201], v[0:1], v[2:3] op_sel:[0,0,1] op_sel_hi:[1,1,0]
	v_pk_fma_f32 v[0:1], v[200:201], v[0:1], v[2:3] op_sel:[0,0,1] op_sel_hi:[1,1,0] neg_lo:[0,0,1] neg_hi:[0,0,1]
	s_nop 0
	v_mov_b32_e32 v17, v1
	v_pk_mul_f32 v[0:1], v[50:51], v[14:15]
	s_nop 0
	v_pk_fma_f32 v[2:3], v[198:199], v[14:15], v[0:1] op_sel:[0,0,1] op_sel_hi:[1,1,0]
	v_pk_fma_f32 v[0:1], v[198:199], v[14:15], v[0:1] op_sel:[0,0,1] op_sel_hi:[1,1,0] neg_lo:[0,0,1] neg_hi:[0,0,1]
	s_nop 0
	v_mov_b32_e32 v3, v1
	v_pk_add_f32 v[0:1], v[10:11], v[16:17]
	s_nop 0
	v_pk_add_f32 v[26:27], v[0:1], v[2:3]
	v_pk_add_f32 v[0:1], v[16:17], v[2:3]
	v_pk_add_f32 v[2:3], v[16:17], v[2:3] neg_lo:[0,1] neg_hi:[0,1]
	v_pk_fma_f32 v[0:1], v[0:1], 0.5, v[10:11] op_sel_hi:[1,0,1] neg_lo:[1,0,0] neg_hi:[1,0,0]
	v_pk_mul_f32 v[2:3], v[2:3], s[0:1] op_sel_hi:[1,0]
	v_pk_add_f32 v[10:11], v[12:13], v[20:21]
	v_pk_add_f32 v[28:29], v[0:1], v[2:3] op_sel:[0,1] op_sel_hi:[1,0] neg_lo:[0,1] neg_hi:[0,1]
	v_pk_add_f32 v[30:31], v[0:1], v[2:3] op_sel:[0,1] op_sel_hi:[1,0]
	ds_read2_b64 v[0:3], v7 offset0:148 offset1:214
	v_pk_add_f32 v[32:33], v[10:11], v[18:19]
	ds_read2_b64 v[10:13], v8 offset0:8 offset1:74
	ds_read2_b64 v[14:17], v6 offset0:32 offset1:98
	s_waitcnt lgkmcnt(2)
	v_pk_mul_f32 v[18:19], v[60:61], v[2:3]
	s_nop 0
	v_pk_fma_f32 v[34:35], v[212:213], v[2:3], v[18:19] op_sel:[0,0,1] op_sel_hi:[1,1,0]
	v_pk_fma_f32 v[2:3], v[212:213], v[2:3], v[18:19] op_sel:[0,0,1] op_sel_hi:[1,1,0] neg_lo:[0,0,1] neg_hi:[0,0,1]
	s_nop 0
	v_mov_b32_e32 v35, v3
	s_waitcnt lgkmcnt(0)
	v_pk_mul_f32 v[2:3], v[62:63], v[16:17]
	s_nop 0
	v_pk_fma_f32 v[36:37], v[210:211], v[16:17], v[2:3] op_sel:[0,0,1] op_sel_hi:[1,1,0]
	v_pk_fma_f32 v[2:3], v[210:211], v[16:17], v[2:3] op_sel:[0,0,1] op_sel_hi:[1,1,0] neg_lo:[0,0,1] neg_hi:[0,0,1]
	s_nop 0
	v_mov_b32_e32 v37, v3
	v_pk_add_f32 v[2:3], v[34:35], v[36:37]
	v_pk_add_f32 v[16:17], v[34:35], v[36:37] neg_lo:[0,1] neg_hi:[0,1]
	v_pk_fma_f32 v[2:3], v[2:3], 0.5, v[12:13] op_sel_hi:[1,0,1] neg_lo:[1,0,0] neg_hi:[1,0,0]
	v_pk_mul_f32 v[16:17], v[16:17], s[0:1] op_sel_hi:[1,0]
	s_nop 0
	v_pk_add_f32 v[38:39], v[2:3], v[16:17] op_sel:[0,1] op_sel_hi:[1,0]
	v_pk_add_f32 v[40:41], v[2:3], v[16:17] op_sel:[0,1] op_sel_hi:[1,0] neg_lo:[0,1] neg_hi:[0,1]
	v_pk_mul_f32 v[2:3], v[56:57], v[0:1]
	s_nop 0
	v_pk_fma_f32 v[42:43], v[208:209], v[0:1], v[2:3] op_sel:[0,0,1] op_sel_hi:[1,1,0]
	v_pk_fma_f32 v[0:1], v[208:209], v[0:1], v[2:3] op_sel:[0,0,1] op_sel_hi:[1,1,0] neg_lo:[0,0,1] neg_hi:[0,0,1]
	s_nop 0
	v_mov_b32_e32 v43, v1
	v_pk_mul_f32 v[0:1], v[58:59], v[14:15]
	s_nop 0
	v_pk_fma_f32 v[44:45], v[206:207], v[14:15], v[0:1] op_sel:[0,0,1] op_sel_hi:[1,1,0]
	v_pk_fma_f32 v[0:1], v[206:207], v[14:15], v[0:1] op_sel:[0,0,1] op_sel_hi:[1,1,0] neg_lo:[0,0,1] neg_hi:[0,0,1]
	s_nop 0
	v_mov_b32_e32 v45, v1
	v_pk_add_f32 v[0:1], v[42:43], v[44:45]
	s_nop 0
	v_pk_fma_f32 v[14:15], v[0:1], 0.5, v[10:11] op_sel_hi:[1,0,1] neg_lo:[1,0,0] neg_hi:[1,0,0]
	v_pk_add_f32 v[0:1], v[42:43], v[44:45] neg_lo:[0,1] neg_hi:[0,1]
	s_nop 0
	v_pk_mul_f32 v[16:17], v[0:1], s[0:1] op_sel_hi:[1,0]
	ds_read2_b64 v[0:3], v7 offset0:16 offset1:82
	v_pk_add_f32 v[46:47], v[14:15], v[16:17] op_sel:[0,1] op_sel_hi:[1,0]
	v_pk_add_f32 v[56:57], v[14:15], v[16:17] op_sel:[0,1] op_sel_hi:[1,0] neg_lo:[0,1] neg_hi:[0,1]
	ds_read2_b64 v[14:17], v135 offset0:132 offset1:198
	ds_read2_b64 v[18:21], v9 offset0:156 offset1:222
	s_waitcnt lgkmcnt(0)
	v_pk_mul_f32 v[52:53], v[52:53], v[2:3]
	s_barrier
	v_pk_fma_f32 v[58:59], v[204:205], v[2:3], v[52:53] op_sel:[0,0,1] op_sel_hi:[1,1,0]
	v_pk_fma_f32 v[2:3], v[204:205], v[2:3], v[52:53] op_sel:[0,0,1] op_sel_hi:[1,1,0] neg_lo:[0,0,1] neg_hi:[0,0,1]
	s_nop 0
	v_mov_b32_e32 v59, v3
	v_pk_mul_f32 v[2:3], v[54:55], v[20:21]
	ds_write2_b64 v135, v[26:27], v[32:33] offset1:66
	v_pk_fma_f32 v[52:53], v[202:203], v[20:21], v[2:3] op_sel:[0,0,1] op_sel_hi:[1,1,0]
	v_pk_fma_f32 v[2:3], v[202:203], v[20:21], v[2:3] op_sel:[0,0,1] op_sel_hi:[1,1,0] neg_lo:[0,0,1] neg_hi:[0,0,1]
	v_mov_b32_e32 v26, v22
	v_mov_b32_e32 v53, v3
	v_pk_add_f32 v[2:3], v[58:59], v[52:53]
	v_pk_add_f32 v[20:21], v[58:59], v[52:53] neg_lo:[0,1] neg_hi:[0,1]
	v_pk_fma_f32 v[2:3], v[2:3], 0.5, v[16:17] op_sel_hi:[1,0,1] neg_lo:[1,0,0] neg_hi:[1,0,0]
	v_pk_mul_f32 v[20:21], v[20:21], s[0:1] op_sel_hi:[1,0]
	v_mov_b32_e32 v27, v25
	v_pk_add_f32 v[54:55], v[2:3], v[20:21] op_sel:[0,1] op_sel_hi:[1,0]
	v_pk_add_f32 v[2:3], v[2:3], v[20:21] op_sel:[0,1] op_sel_hi:[1,0] neg_lo:[0,1] neg_hi:[0,1]
	v_pk_mul_f32 v[20:21], v[48:49], v[0:1]
	v_mov_b32_e32 v25, v23
	v_pk_fma_f32 v[48:49], v[200:201], v[0:1], v[20:21] op_sel:[0,0,1] op_sel_hi:[1,1,0]
	v_pk_fma_f32 v[0:1], v[200:201], v[0:1], v[20:21] op_sel:[0,0,1] op_sel_hi:[1,1,0] neg_lo:[0,0,1] neg_hi:[0,0,1]
	s_nop 0
	v_mov_b32_e32 v49, v1
	v_pk_mul_f32 v[0:1], v[50:51], v[18:19]
	s_nop 0
	v_pk_fma_f32 v[20:21], v[198:199], v[18:19], v[0:1] op_sel:[0,0,1] op_sel_hi:[1,1,0]
	v_pk_fma_f32 v[0:1], v[198:199], v[18:19], v[0:1] op_sel:[0,0,1] op_sel_hi:[1,1,0] neg_lo:[0,0,1] neg_hi:[0,0,1]
	s_nop 0
	v_mov_b32_e32 v21, v1
	v_pk_add_f32 v[0:1], v[48:49], v[20:21]
	v_pk_add_f32 v[18:19], v[48:49], v[20:21] neg_lo:[0,1] neg_hi:[0,1]
	v_pk_fma_f32 v[0:1], v[0:1], 0.5, v[14:15] op_sel_hi:[1,0,1] neg_lo:[1,0,0] neg_hi:[1,0,0]
	v_pk_mul_f32 v[18:19], v[18:19], s[0:1] op_sel_hi:[1,0]
	v_pk_add_f32 v[14:15], v[14:15], v[48:49]
	v_pk_add_f32 v[50:51], v[0:1], v[18:19] op_sel:[0,1] op_sel_hi:[1,0]
	v_pk_add_f32 v[0:1], v[0:1], v[18:19] op_sel:[0,1] op_sel_hi:[1,0] neg_lo:[0,1] neg_hi:[0,1]
	v_mov_b32_e32 v18, v28
	v_mov_b32_e32 v19, v31
	ds_write2_b64 v135, v[18:19], v[26:27] offset0:132 offset1:198
	v_mov_b32_e32 v18, v0
	v_mov_b32_e32 v19, v51
	;; [unrolled: 1-line block ×3, first 2 shown]
	v_pk_add_f32 v[0:1], v[16:17], v[58:59]
	v_pk_add_f32 v[14:15], v[14:15], v[20:21]
	;; [unrolled: 1-line block ×3, first 2 shown]
	ds_write2_b64 v8, v[14:15], v[0:1] offset0:140 offset1:206
	v_mov_b32_e32 v0, v2
	v_mov_b32_e32 v1, v55
	ds_write2_b64 v7, v[18:19], v[0:1] offset0:16 offset1:82
	v_pk_add_f32 v[0:1], v[10:11], v[42:43]
	v_accvgpr_read_b32 v11, a59
	v_mov_b32_e32 v31, v29
	v_mov_b32_e32 v55, v3
	v_pk_add_f32 v[0:1], v[0:1], v[44:45]
	v_mov_b32_e32 v2, v56
	v_mov_b32_e32 v3, v47
	v_add_u32_e32 v10, 0x1800, v11
	v_mov_b32_e32 v47, v57
	ds_write2_b64 v8, v[30:31], v[24:25] offset0:8 offset1:74
	ds_write2_b64 v7, v[50:51], v[54:55] offset0:148 offset1:214
	;; [unrolled: 1-line block ×3, first 2 shown]
	ds_write_b64 v11, v[46:47] offset:8448
	v_pk_add_f32 v[0:1], v[12:13], v[34:35]
	v_accvgpr_read_b32 v11, a58
	v_pk_add_f32 v[0:1], v[0:1], v[36:37]
	v_mov_b32_e32 v2, v40
	v_mov_b32_e32 v3, v39
	v_add_u32_e32 v10, 0x1800, v11
	v_mov_b32_e32 v39, v41
	ds_write2_b64 v10, v[0:1], v[2:3] offset0:24 offset1:156
	ds_write_b64 v11, v[38:39] offset:8448
	s_waitcnt lgkmcnt(0)
	s_barrier
	ds_read2_b64 v[0:3], v8 offset0:140 offset1:206
	ds_read2_b64 v[10:13], v135 offset1:66
	ds_read2_b64 v[14:17], v9 offset0:24 offset1:90
	v_mad_u64_u32 v[26:27], s[2:3], s6, v134, 0
	s_waitcnt lgkmcnt(2)
	v_pk_mul_f32 v[18:19], v[84:85], v[0:1]
	s_nop 0
	v_pk_fma_f32 v[28:29], v[196:197], v[0:1], v[18:19] op_sel:[0,0,1] op_sel_hi:[1,1,0]
	v_pk_fma_f32 v[0:1], v[196:197], v[0:1], v[18:19] op_sel:[0,0,1] op_sel_hi:[1,1,0] neg_lo:[0,0,1] neg_hi:[0,0,1]
	s_nop 0
	v_mov_b32_e32 v29, v1
	s_waitcnt lgkmcnt(0)
	v_pk_mul_f32 v[0:1], v[86:87], v[14:15]
	s_nop 0
	v_pk_fma_f32 v[30:31], v[194:195], v[14:15], v[0:1] op_sel:[0,0,1] op_sel_hi:[1,1,0]
	v_pk_fma_f32 v[0:1], v[194:195], v[14:15], v[0:1] op_sel:[0,0,1] op_sel_hi:[1,1,0] neg_lo:[0,0,1] neg_hi:[0,0,1]
	s_nop 0
	v_mov_b32_e32 v31, v1
	v_pk_add_f32 v[0:1], v[10:11], v[28:29]
	s_nop 0
	v_pk_add_f32 v[32:33], v[0:1], v[30:31]
	v_pk_mul_f32 v[0:1], v[80:81], v[2:3]
	s_nop 0
	v_pk_fma_f32 v[34:35], v[192:193], v[2:3], v[0:1] op_sel:[0,0,1] op_sel_hi:[1,1,0]
	v_pk_fma_f32 v[0:1], v[192:193], v[2:3], v[0:1] op_sel:[0,0,1] op_sel_hi:[1,1,0] neg_lo:[0,0,1] neg_hi:[0,0,1]
	s_nop 0
	v_mov_b32_e32 v35, v1
	v_pk_mul_f32 v[0:1], v[82:83], v[16:17]
	v_pk_add_f32 v[14:15], v[12:13], v[34:35]
	v_pk_fma_f32 v[36:37], v[190:191], v[16:17], v[0:1] op_sel:[0,0,1] op_sel_hi:[1,1,0]
	v_pk_fma_f32 v[0:1], v[190:191], v[16:17], v[0:1] op_sel:[0,0,1] op_sel_hi:[1,1,0] neg_lo:[0,0,1] neg_hi:[0,0,1]
	s_nop 0
	v_mov_b32_e32 v37, v1
	ds_read2_b64 v[0:3], v7 offset0:16 offset1:82
	v_pk_add_f32 v[38:39], v[14:15], v[36:37]
	ds_read2_b64 v[14:17], v135 offset0:132 offset1:198
	ds_read2_b64 v[18:21], v9 offset0:156 offset1:222
	s_waitcnt lgkmcnt(2)
	v_pk_mul_f32 v[22:23], v[76:77], v[0:1]
	s_nop 0
	v_pk_fma_f32 v[40:41], v[188:189], v[0:1], v[22:23] op_sel:[0,0,1] op_sel_hi:[1,1,0]
	v_pk_fma_f32 v[0:1], v[188:189], v[0:1], v[22:23] op_sel:[0,0,1] op_sel_hi:[1,1,0] neg_lo:[0,0,1] neg_hi:[0,0,1]
	s_nop 0
	v_mov_b32_e32 v41, v1
	s_waitcnt lgkmcnt(0)
	v_pk_mul_f32 v[0:1], v[78:79], v[18:19]
	s_nop 0
	v_pk_fma_f32 v[42:43], v[186:187], v[18:19], v[0:1] op_sel:[0,0,1] op_sel_hi:[1,1,0]
	v_pk_fma_f32 v[0:1], v[186:187], v[18:19], v[0:1] op_sel:[0,0,1] op_sel_hi:[1,1,0] neg_lo:[0,0,1] neg_hi:[0,0,1]
	s_nop 0
	v_mov_b32_e32 v43, v1
	v_pk_add_f32 v[0:1], v[14:15], v[40:41]
	s_nop 0
	v_pk_add_f32 v[44:45], v[0:1], v[42:43]
	v_pk_mul_f32 v[0:1], v[72:73], v[2:3]
	s_nop 0
	v_pk_fma_f32 v[46:47], v[184:185], v[2:3], v[0:1] op_sel:[0,0,1] op_sel_hi:[1,1,0]
	v_pk_fma_f32 v[0:1], v[184:185], v[2:3], v[0:1] op_sel:[0,0,1] op_sel_hi:[1,1,0] neg_lo:[0,0,1] neg_hi:[0,0,1]
	s_nop 0
	v_mov_b32_e32 v47, v1
	v_pk_mul_f32 v[0:1], v[74:75], v[20:21]
	v_pk_add_f32 v[18:19], v[16:17], v[46:47]
	v_pk_fma_f32 v[48:49], v[182:183], v[20:21], v[0:1] op_sel:[0,0,1] op_sel_hi:[1,1,0]
	v_pk_fma_f32 v[0:1], v[182:183], v[20:21], v[0:1] op_sel:[0,0,1] op_sel_hi:[1,1,0] neg_lo:[0,0,1] neg_hi:[0,0,1]
	s_nop 0
	v_mov_b32_e32 v49, v1
	ds_read2_b64 v[0:3], v7 offset0:148 offset1:214
	v_pk_add_f32 v[50:51], v[18:19], v[48:49]
	ds_read2_b64 v[18:21], v8 offset0:8 offset1:74
	ds_read2_b64 v[22:25], v6 offset0:32 offset1:98
	ds_write2_b64 v135, v[32:33], v[38:39] offset1:66
	s_waitcnt lgkmcnt(3)
	v_pk_mul_f32 v[52:53], v[68:69], v[0:1]
	s_nop 0
	v_pk_fma_f32 v[54:55], v[180:181], v[0:1], v[52:53] op_sel:[0,0,1] op_sel_hi:[1,1,0]
	v_pk_fma_f32 v[0:1], v[180:181], v[0:1], v[52:53] op_sel:[0,0,1] op_sel_hi:[1,1,0] neg_lo:[0,0,1] neg_hi:[0,0,1]
	s_nop 0
	v_mov_b32_e32 v55, v1
	s_waitcnt lgkmcnt(1)
	v_pk_mul_f32 v[0:1], v[70:71], v[22:23]
	s_nop 0
	v_pk_fma_f32 v[52:53], v[178:179], v[22:23], v[0:1] op_sel:[0,0,1] op_sel_hi:[1,1,0]
	v_pk_fma_f32 v[0:1], v[178:179], v[22:23], v[0:1] op_sel:[0,0,1] op_sel_hi:[1,1,0] neg_lo:[0,0,1] neg_hi:[0,0,1]
	v_pk_mul_f32 v[22:23], v[64:65], v[2:3]
	v_mov_b32_e32 v53, v1
	v_pk_fma_f32 v[56:57], v[96:97], v[2:3], v[22:23] op_sel:[0,0,1] op_sel_hi:[1,1,0]
	v_pk_fma_f32 v[2:3], v[96:97], v[2:3], v[22:23] op_sel:[0,0,1] op_sel_hi:[1,1,0] neg_lo:[0,0,1] neg_hi:[0,0,1]
	v_pk_add_f32 v[0:1], v[18:19], v[54:55]
	v_mov_b32_e32 v57, v3
	v_pk_mul_f32 v[2:3], v[66:67], v[24:25]
	v_pk_add_f32 v[0:1], v[0:1], v[52:53]
	v_pk_fma_f32 v[22:23], v[88:89], v[24:25], v[2:3] op_sel:[0,0,1] op_sel_hi:[1,1,0]
	v_pk_fma_f32 v[2:3], v[88:89], v[24:25], v[2:3] op_sel:[0,0,1] op_sel_hi:[1,1,0] neg_lo:[0,0,1] neg_hi:[0,0,1]
	v_pk_add_f32 v[24:25], v[28:29], v[30:31]
	v_mov_b32_e32 v23, v3
	v_pk_fma_f32 v[10:11], v[24:25], 0.5, v[10:11] op_sel_hi:[1,0,1] neg_lo:[1,0,0] neg_hi:[1,0,0]
	v_pk_add_f32 v[24:25], v[28:29], v[30:31] neg_lo:[0,1] neg_hi:[0,1]
	v_pk_add_f32 v[2:3], v[20:21], v[56:57]
	v_pk_mul_f32 v[24:25], v[24:25], s[0:1] op_sel_hi:[1,0]
	v_pk_add_f32 v[2:3], v[2:3], v[22:23]
	v_pk_add_f32 v[28:29], v[10:11], v[24:25] op_sel:[0,1] op_sel_hi:[1,0] neg_lo:[0,1] neg_hi:[0,1]
	v_pk_add_f32 v[10:11], v[10:11], v[24:25] op_sel:[0,1] op_sel_hi:[1,0]
	v_mov_b32_e32 v24, v28
	v_mov_b32_e32 v25, v11
	;; [unrolled: 1-line block ×3, first 2 shown]
	v_pk_add_f32 v[28:29], v[34:35], v[36:37]
	s_nop 0
	v_pk_fma_f32 v[12:13], v[28:29], 0.5, v[12:13] op_sel_hi:[1,0,1] neg_lo:[1,0,0] neg_hi:[1,0,0]
	v_pk_add_f32 v[28:29], v[34:35], v[36:37] neg_lo:[0,1] neg_hi:[0,1]
	s_nop 0
	v_pk_mul_f32 v[28:29], v[28:29], s[0:1] op_sel_hi:[1,0]
	s_nop 0
	v_pk_add_f32 v[30:31], v[12:13], v[28:29] op_sel:[0,1] op_sel_hi:[1,0] neg_lo:[0,1] neg_hi:[0,1]
	v_pk_add_f32 v[12:13], v[12:13], v[28:29] op_sel:[0,1] op_sel_hi:[1,0]
	v_mov_b32_e32 v28, v30
	v_mov_b32_e32 v29, v13
	;; [unrolled: 1-line block ×3, first 2 shown]
	ds_write2_b64 v9, v[10:11], v[12:13] offset0:24 offset1:90
	v_pk_add_f32 v[10:11], v[40:41], v[42:43]
	v_pk_add_f32 v[12:13], v[40:41], v[42:43] neg_lo:[0,1] neg_hi:[0,1]
	v_pk_fma_f32 v[10:11], v[10:11], 0.5, v[14:15] op_sel_hi:[1,0,1] neg_lo:[1,0,0] neg_hi:[1,0,0]
	v_pk_mul_f32 v[12:13], v[12:13], s[0:1] op_sel_hi:[1,0]
	ds_write2_b64 v8, v[24:25], v[28:29] offset0:140 offset1:206
	v_pk_add_f32 v[14:15], v[10:11], v[12:13] op_sel:[0,1] op_sel_hi:[1,0] neg_lo:[0,1] neg_hi:[0,1]
	v_pk_add_f32 v[10:11], v[10:11], v[12:13] op_sel:[0,1] op_sel_hi:[1,0]
	v_mov_b32_e32 v12, v14
	v_mov_b32_e32 v13, v11
	v_accvgpr_read_b32 v14, a62
	v_mov_b32_e32 v11, v15
	ds_write_b64 v14, v[12:13] offset:3168
	ds_write_b64 v14, v[10:11] offset:6336
	ds_write2_b64 v135, v[44:45], v[50:51] offset0:132 offset1:198
	v_pk_add_f32 v[10:11], v[46:47], v[48:49]
	v_pk_add_f32 v[12:13], v[46:47], v[48:49] neg_lo:[0,1] neg_hi:[0,1]
	v_pk_fma_f32 v[10:11], v[10:11], 0.5, v[16:17] op_sel_hi:[1,0,1] neg_lo:[1,0,0] neg_hi:[1,0,0]
	v_pk_mul_f32 v[12:13], v[12:13], s[0:1] op_sel_hi:[1,0]
	v_mov_b32_e32 v24, 0x630
	v_pk_add_f32 v[14:15], v[10:11], v[12:13] op_sel:[0,1] op_sel_hi:[1,0] neg_lo:[0,1] neg_hi:[0,1]
	v_pk_add_f32 v[10:11], v[10:11], v[12:13] op_sel:[0,1] op_sel_hi:[1,0]
	v_mov_b32_e32 v12, v14
	v_mov_b32_e32 v13, v11
	v_accvgpr_read_b32 v14, a61
	v_mov_b32_e32 v11, v15
	ds_write_b64 v14, v[12:13] offset:3168
	ds_write_b64 v14, v[10:11] offset:6336
	v_pk_add_f32 v[10:11], v[54:55], v[52:53]
	v_pk_add_f32 v[12:13], v[54:55], v[52:53] neg_lo:[0,1] neg_hi:[0,1]
	v_pk_fma_f32 v[10:11], v[10:11], 0.5, v[18:19] op_sel_hi:[1,0,1] neg_lo:[1,0,0] neg_hi:[1,0,0]
	v_pk_mul_f32 v[12:13], v[12:13], s[0:1] op_sel_hi:[1,0]
	s_nop 0
	v_pk_add_f32 v[14:15], v[10:11], v[12:13] op_sel:[0,1] op_sel_hi:[1,0] neg_lo:[0,1] neg_hi:[0,1]
	v_pk_add_f32 v[10:11], v[10:11], v[12:13] op_sel:[0,1] op_sel_hi:[1,0]
	v_mov_b32_e32 v12, v14
	v_mov_b32_e32 v13, v11
	v_accvgpr_read_b32 v14, a60
	v_mov_b32_e32 v11, v15
	ds_write_b64 v14, v[12:13] offset:3168
	ds_write_b64 v14, v[10:11] offset:6336
	ds_write2_b64 v8, v[0:1], v[2:3] offset0:8 offset1:74
	v_pk_add_f32 v[0:1], v[56:57], v[22:23]
	v_pk_add_f32 v[2:3], v[56:57], v[22:23] neg_lo:[0,1] neg_hi:[0,1]
	v_pk_fma_f32 v[0:1], v[0:1], 0.5, v[20:21] op_sel_hi:[1,0,1] neg_lo:[1,0,0] neg_hi:[1,0,0]
	v_pk_mul_f32 v[2:3], v[2:3], s[0:1] op_sel_hi:[1,0]
	v_accvgpr_read_b32 v20, a32
	v_pk_add_f32 v[10:11], v[0:1], v[2:3] op_sel:[0,1] op_sel_hi:[1,0] neg_lo:[0,1] neg_hi:[0,1]
	v_pk_add_f32 v[0:1], v[0:1], v[2:3] op_sel:[0,1] op_sel_hi:[1,0]
	v_mov_b32_e32 v2, v10
	v_mov_b32_e32 v3, v1
	v_accvgpr_read_b32 v10, a45
	v_mov_b32_e32 v1, v11
	ds_write_b64 v10, v[2:3] offset:3168
	ds_write_b64 v10, v[0:1] offset:6336
	s_waitcnt lgkmcnt(0)
	s_barrier
	ds_read2_b64 v[10:13], v135 offset1:66
	v_mov_b32_e32 v0, v27
	v_accvgpr_read_b32 v2, a26
	v_mad_u64_u32 v[0:1], s[0:1], s7, v134, v[0:1]
	v_accvgpr_read_b32 v3, a27
	v_mov_b32_e32 v27, v0
	s_waitcnt lgkmcnt(0)
	v_mul_f32_e32 v0, v3, v11
	v_fmac_f32_e32 v0, v2, v10
	s_mov_b32 s0, 0x2b18ff23
	v_cvt_f64_f32_e32 v[0:1], v0
	s_mov_b32 s1, 0x3f4b951e
	v_mul_f64 v[0:1], v[0:1], s[0:1]
	v_cvt_f32_f64_e32 v14, v[0:1]
	v_mul_f32_e32 v0, v3, v10
	v_fma_f32 v0, v2, v11, -v0
	v_cvt_f64_f32_e32 v[0:1], v0
	v_accvgpr_read_b32 v2, a4
	v_mul_f64 v[0:1], v[0:1], s[0:1]
	v_mad_u64_u32 v[10:11], s[2:3], s4, v2, 0
	v_cvt_f32_f64_e32 v15, v[0:1]
	v_mov_b32_e32 v0, v11
	v_mad_u64_u32 v[16:17], s[2:3], s5, v2, v[0:1]
	ds_read2_b64 v[0:3], v135 offset0:132 offset1:198
	v_mov_b32_e32 v11, v16
	v_accvgpr_read_b32 v16, a34
	v_lshl_add_u64 v[4:5], v[26:27], 3, v[4:5]
	v_accvgpr_read_b32 v17, a35
	v_lshl_add_u64 v[10:11], v[10:11], 3, v[4:5]
	s_waitcnt lgkmcnt(0)
	v_mul_f32_e32 v4, v17, v3
	v_fmac_f32_e32 v4, v16, v2
	v_mul_f32_e32 v2, v17, v2
	v_fma_f32 v2, v16, v3, -v2
	v_cvt_f64_f32_e32 v[4:5], v4
	v_cvt_f64_f32_e32 v[2:3], v2
	v_mul_f64 v[4:5], v[4:5], s[0:1]
	v_mul_f64 v[2:3], v[2:3], s[0:1]
	global_store_dwordx2 v[10:11], v[14:15], off
	v_cvt_f32_f64_e32 v14, v[4:5]
	v_cvt_f32_f64_e32 v15, v[2:3]
	ds_read2_b64 v[2:5], v8 offset0:140 offset1:206
	v_mad_u64_u32 v[10:11], s[2:3], s4, v24, v[10:11]
	s_mul_i32 s2, s5, 0x630
	v_accvgpr_read_b32 v16, a28
	v_add_u32_e32 v11, s2, v11
	v_accvgpr_read_b32 v17, a29
	global_store_dwordx2 v[10:11], v[14:15], off
	s_waitcnt lgkmcnt(0)
	v_mul_f32_e32 v14, v17, v3
	v_fmac_f32_e32 v14, v16, v2
	v_mul_f32_e32 v2, v17, v2
	v_cvt_f64_f32_e32 v[14:15], v14
	v_fma_f32 v2, v16, v3, -v2
	v_mul_f64 v[14:15], v[14:15], s[0:1]
	v_cvt_f64_f32_e32 v[2:3], v2
	v_cvt_f32_f64_e32 v18, v[14:15]
	v_mul_f64 v[2:3], v[2:3], s[0:1]
	ds_read2_b64 v[14:17], v7 offset0:16 offset1:82
	v_cvt_f32_f64_e32 v19, v[2:3]
	v_mad_u64_u32 v[2:3], s[6:7], s4, v24, v[10:11]
	v_add_u32_e32 v3, s2, v3
	global_store_dwordx2 v[2:3], v[18:19], off
	v_accvgpr_read_b32 v18, a36
	v_accvgpr_read_b32 v19, a37
	s_waitcnt lgkmcnt(0)
	v_mul_f32_e32 v10, v19, v17
	v_fmac_f32_e32 v10, v18, v16
	v_cvt_f64_f32_e32 v[10:11], v10
	v_mul_f64 v[10:11], v[10:11], s[0:1]
	v_cvt_f32_f64_e32 v10, v[10:11]
	v_mul_f32_e32 v11, v19, v16
	v_fma_f32 v11, v18, v17, -v11
	v_cvt_f64_f32_e32 v[16:17], v11
	v_mul_f64 v[16:17], v[16:17], s[0:1]
	v_cvt_f32_f64_e32 v11, v[16:17]
	ds_read2_b64 v[16:19], v9 offset0:24 offset1:90
	v_mad_u64_u32 v[2:3], s[6:7], s4, v24, v[2:3]
	v_add_u32_e32 v3, s2, v3
	v_accvgpr_read_b32 v21, a33
	global_store_dwordx2 v[2:3], v[10:11], off
	s_waitcnt lgkmcnt(0)
	v_mul_f32_e32 v10, v21, v17
	v_fmac_f32_e32 v10, v20, v16
	v_cvt_f64_f32_e32 v[10:11], v10
	v_mul_f64 v[10:11], v[10:11], s[0:1]
	v_cvt_f32_f64_e32 v10, v[10:11]
	v_mul_f32_e32 v11, v21, v16
	v_fma_f32 v11, v20, v17, -v11
	ds_read2_b64 v[20:23], v9 offset0:156 offset1:222
	v_cvt_f64_f32_e32 v[16:17], v11
	v_mul_f64 v[16:17], v[16:17], s[0:1]
	v_cvt_f32_f64_e32 v11, v[16:17]
	v_accvgpr_read_b32 v16, a30
	v_accvgpr_read_b32 v17, a31
	v_mad_u64_u32 v[2:3], s[6:7], s4, v24, v[2:3]
	s_waitcnt lgkmcnt(0)
	v_mul_f32_e32 v9, v17, v23
	v_add_u32_e32 v3, s2, v3
	v_fmac_f32_e32 v9, v16, v22
	global_store_dwordx2 v[2:3], v[10:11], off
	v_cvt_f64_f32_e32 v[10:11], v9
	v_mul_f32_e32 v9, v17, v22
	v_fma_f32 v9, v16, v23, -v9
	v_cvt_f64_f32_e32 v[16:17], v9
	v_accvgpr_read_b32 v23, a9
	v_mul_f64 v[10:11], v[10:11], s[0:1]
	v_mul_f64 v[16:17], v[16:17], s[0:1]
	v_mad_u64_u32 v[2:3], s[6:7], s4, v24, v[2:3]
	v_accvgpr_read_b32 v22, a8
	v_mul_f32_e32 v9, v23, v13
	v_cvt_f32_f64_e32 v10, v[10:11]
	v_cvt_f32_f64_e32 v11, v[16:17]
	v_add_u32_e32 v3, s2, v3
	v_fmac_f32_e32 v9, v22, v12
	global_store_dwordx2 v[2:3], v[10:11], off
	v_cvt_f64_f32_e32 v[10:11], v9
	v_mul_f32_e32 v9, v23, v12
	v_mul_f64 v[10:11], v[10:11], s[0:1]
	v_fma_f32 v9, v22, v13, -v9
	v_cvt_f32_f64_e32 v16, v[10:11]
	v_cvt_f64_f32_e32 v[10:11], v9
	v_mul_f64 v[10:11], v[10:11], s[0:1]
	v_cvt_f32_f64_e32 v17, v[10:11]
	ds_read2_b64 v[8:11], v8 offset0:8 offset1:74
	v_mov_b32_e32 v22, 0xffffe320
	s_mul_i32 s3, s5, 0xffffe320
	v_mad_u64_u32 v[2:3], s[6:7], s4, v22, v[2:3]
	s_sub_i32 s3, s3, s4
	v_add_u32_e32 v3, s3, v3
	global_store_dwordx2 v[2:3], v[16:17], off
	v_accvgpr_read_b32 v17, a7
	v_accvgpr_read_b32 v16, a6
	s_waitcnt lgkmcnt(0)
	v_mul_f32_e32 v12, v17, v9
	v_fmac_f32_e32 v12, v16, v8
	v_mul_f32_e32 v8, v17, v8
	v_fma_f32 v8, v16, v9, -v8
	v_cvt_f64_f32_e32 v[12:13], v12
	v_cvt_f64_f32_e32 v[8:9], v8
	v_mul_f64 v[12:13], v[12:13], s[0:1]
	v_mul_f64 v[8:9], v[8:9], s[0:1]
	v_accvgpr_read_b32 v17, a3
	v_cvt_f32_f64_e32 v12, v[12:13]
	v_cvt_f32_f64_e32 v13, v[8:9]
	v_mad_u64_u32 v[8:9], s[6:7], s4, v24, v[2:3]
	v_accvgpr_read_b32 v16, a2
	v_mul_f32_e32 v2, v17, v5
	v_fmac_f32_e32 v2, v16, v4
	v_cvt_f64_f32_e32 v[2:3], v2
	v_add_u32_e32 v9, s2, v9
	v_mul_f64 v[2:3], v[2:3], s[0:1]
	global_store_dwordx2 v[8:9], v[12:13], off
	v_cvt_f32_f64_e32 v12, v[2:3]
	v_mul_f32_e32 v2, v17, v4
	v_fma_f32 v2, v16, v5, -v2
	v_cvt_f64_f32_e32 v[2:3], v2
	v_mul_f64 v[2:3], v[2:3], s[0:1]
	v_cvt_f32_f64_e32 v13, v[2:3]
	ds_read2_b64 v[2:5], v7 offset0:148 offset1:214
	v_accvgpr_read_b32 v16, a22
	v_accvgpr_read_b32 v17, a23
	v_mad_u64_u32 v[8:9], s[6:7], s4, v24, v[8:9]
	s_waitcnt lgkmcnt(0)
	v_mul_f32_e32 v7, v17, v3
	v_fmac_f32_e32 v7, v16, v2
	v_mul_f32_e32 v2, v17, v2
	v_fma_f32 v2, v16, v3, -v2
	v_accvgpr_read_b32 v16, a16
	v_add_u32_e32 v9, s2, v9
	v_accvgpr_read_b32 v17, a17
	global_store_dwordx2 v[8:9], v[12:13], off
	v_cvt_f64_f32_e32 v[12:13], v7
	v_cvt_f64_f32_e32 v[2:3], v2
	v_mul_f32_e32 v7, v17, v19
	v_mul_f64 v[12:13], v[12:13], s[0:1]
	v_mul_f64 v[2:3], v[2:3], s[0:1]
	v_fmac_f32_e32 v7, v16, v18
	v_cvt_f32_f64_e32 v12, v[12:13]
	v_cvt_f32_f64_e32 v13, v[2:3]
	v_mad_u64_u32 v[2:3], s[6:7], s4, v24, v[8:9]
	v_cvt_f64_f32_e32 v[8:9], v7
	v_mul_f32_e32 v7, v17, v18
	v_add_u32_e32 v3, s2, v3
	v_mul_f64 v[8:9], v[8:9], s[0:1]
	v_fma_f32 v7, v16, v19, -v7
	global_store_dwordx2 v[2:3], v[12:13], off
	v_cvt_f32_f64_e32 v12, v[8:9]
	v_cvt_f64_f32_e32 v[8:9], v7
	v_mul_f64 v[8:9], v[8:9], s[0:1]
	v_cvt_f32_f64_e32 v13, v[8:9]
	ds_read2_b64 v[6:9], v6 offset0:32 offset1:98
	v_mad_u64_u32 v[2:3], s[6:7], s4, v24, v[2:3]
	v_accvgpr_read_b32 v16, a24
	v_add_u32_e32 v3, s2, v3
	v_accvgpr_read_b32 v17, a25
	global_store_dwordx2 v[2:3], v[12:13], off
	s_waitcnt lgkmcnt(0)
	v_mul_f32_e32 v12, v17, v7
	v_fmac_f32_e32 v12, v16, v6
	v_mul_f32_e32 v6, v17, v6
	v_fma_f32 v6, v16, v7, -v6
	v_cvt_f64_f32_e32 v[12:13], v12
	v_cvt_f64_f32_e32 v[6:7], v6
	v_mul_f64 v[12:13], v[12:13], s[0:1]
	v_mul_f64 v[6:7], v[6:7], s[0:1]
	v_mad_u64_u32 v[2:3], s[6:7], s4, v24, v[2:3]
	v_cvt_f32_f64_e32 v12, v[12:13]
	v_cvt_f32_f64_e32 v13, v[6:7]
	v_add_u32_e32 v3, s2, v3
	global_store_dwordx2 v[2:3], v[12:13], off
	v_accvgpr_read_b32 v13, a1
	v_accvgpr_read_b32 v12, a0
	v_mul_f32_e32 v6, v13, v1
	v_fmac_f32_e32 v6, v12, v0
	v_mul_f32_e32 v0, v13, v0
	v_fma_f32 v0, v12, v1, -v0
	v_cvt_f64_f32_e32 v[6:7], v6
	v_cvt_f64_f32_e32 v[0:1], v0
	v_mul_f64 v[6:7], v[6:7], s[0:1]
	v_mul_f64 v[0:1], v[0:1], s[0:1]
	v_cvt_f32_f64_e32 v6, v[6:7]
	v_cvt_f32_f64_e32 v7, v[0:1]
	v_mad_u64_u32 v[0:1], s[6:7], s4, v22, v[2:3]
	v_add_u32_e32 v1, s3, v1
	global_store_dwordx2 v[0:1], v[6:7], off
	v_accvgpr_read_b32 v6, a18
	v_accvgpr_read_b32 v7, a19
	v_mul_f32_e32 v2, v7, v11
	v_fmac_f32_e32 v2, v6, v10
	v_cvt_f64_f32_e32 v[2:3], v2
	v_mul_f64 v[2:3], v[2:3], s[0:1]
	v_cvt_f32_f64_e32 v2, v[2:3]
	v_mul_f32_e32 v3, v7, v10
	v_fma_f32 v3, v6, v11, -v3
	v_cvt_f64_f32_e32 v[6:7], v3
	v_mul_f64 v[6:7], v[6:7], s[0:1]
	v_cvt_f32_f64_e32 v3, v[6:7]
	v_mad_u64_u32 v[0:1], s[6:7], s4, v24, v[0:1]
	v_accvgpr_read_b32 v6, a20
	v_add_u32_e32 v1, s2, v1
	v_accvgpr_read_b32 v7, a21
	global_store_dwordx2 v[0:1], v[2:3], off
	v_mul_f32_e32 v2, v7, v15
	v_fmac_f32_e32 v2, v6, v14
	v_cvt_f64_f32_e32 v[2:3], v2
	v_mul_f64 v[2:3], v[2:3], s[0:1]
	v_cvt_f32_f64_e32 v2, v[2:3]
	v_mul_f32_e32 v3, v7, v14
	v_fma_f32 v3, v6, v15, -v3
	v_cvt_f64_f32_e32 v[6:7], v3
	v_mul_f64 v[6:7], v[6:7], s[0:1]
	v_cvt_f32_f64_e32 v3, v[6:7]
	v_mad_u64_u32 v[0:1], s[6:7], s4, v24, v[0:1]
	v_accvgpr_read_b32 v6, a10
	v_add_u32_e32 v1, s2, v1
	v_accvgpr_read_b32 v7, a11
	global_store_dwordx2 v[0:1], v[2:3], off
	;; [unrolled: 15-line block ×4, first 2 shown]
	v_mul_f32_e32 v2, v5, v9
	v_fmac_f32_e32 v2, v4, v8
	v_cvt_f64_f32_e32 v[2:3], v2
	v_mul_f64 v[2:3], v[2:3], s[0:1]
	v_cvt_f32_f64_e32 v2, v[2:3]
	v_mul_f32_e32 v3, v5, v8
	v_fma_f32 v3, v4, v9, -v3
	v_cvt_f64_f32_e32 v[4:5], v3
	v_mul_f64 v[4:5], v[4:5], s[0:1]
	v_mad_u64_u32 v[0:1], s[0:1], s4, v24, v[0:1]
	v_cvt_f32_f64_e32 v3, v[4:5]
	v_add_u32_e32 v1, s2, v1
	global_store_dwordx2 v[0:1], v[2:3], off
.LBB0_12:
	s_endpgm
	.section	.rodata,"a",@progbits
	.p2align	6, 0x0
	.amdhsa_kernel bluestein_single_fwd_len1188_dim1_sp_op_CI_CI
		.amdhsa_group_segment_fixed_size 28512
		.amdhsa_private_segment_fixed_size 0
		.amdhsa_kernarg_size 104
		.amdhsa_user_sgpr_count 2
		.amdhsa_user_sgpr_dispatch_ptr 0
		.amdhsa_user_sgpr_queue_ptr 0
		.amdhsa_user_sgpr_kernarg_segment_ptr 1
		.amdhsa_user_sgpr_dispatch_id 0
		.amdhsa_user_sgpr_kernarg_preload_length 0
		.amdhsa_user_sgpr_kernarg_preload_offset 0
		.amdhsa_user_sgpr_private_segment_size 0
		.amdhsa_uses_dynamic_stack 0
		.amdhsa_enable_private_segment 0
		.amdhsa_system_sgpr_workgroup_id_x 1
		.amdhsa_system_sgpr_workgroup_id_y 0
		.amdhsa_system_sgpr_workgroup_id_z 0
		.amdhsa_system_sgpr_workgroup_info 0
		.amdhsa_system_vgpr_workitem_id 0
		.amdhsa_next_free_vgpr 338
		.amdhsa_next_free_sgpr 48
		.amdhsa_accum_offset 256
		.amdhsa_reserve_vcc 1
		.amdhsa_float_round_mode_32 0
		.amdhsa_float_round_mode_16_64 0
		.amdhsa_float_denorm_mode_32 3
		.amdhsa_float_denorm_mode_16_64 3
		.amdhsa_dx10_clamp 1
		.amdhsa_ieee_mode 1
		.amdhsa_fp16_overflow 0
		.amdhsa_tg_split 0
		.amdhsa_exception_fp_ieee_invalid_op 0
		.amdhsa_exception_fp_denorm_src 0
		.amdhsa_exception_fp_ieee_div_zero 0
		.amdhsa_exception_fp_ieee_overflow 0
		.amdhsa_exception_fp_ieee_underflow 0
		.amdhsa_exception_fp_ieee_inexact 0
		.amdhsa_exception_int_div_zero 0
	.end_amdhsa_kernel
	.text
.Lfunc_end0:
	.size	bluestein_single_fwd_len1188_dim1_sp_op_CI_CI, .Lfunc_end0-bluestein_single_fwd_len1188_dim1_sp_op_CI_CI
                                        ; -- End function
	.section	.AMDGPU.csdata,"",@progbits
; Kernel info:
; codeLenInByte = 22600
; NumSgprs: 54
; NumVgprs: 256
; NumAgprs: 82
; TotalNumVgprs: 338
; ScratchSize: 0
; MemoryBound: 0
; FloatMode: 240
; IeeeMode: 1
; LDSByteSize: 28512 bytes/workgroup (compile time only)
; SGPRBlocks: 6
; VGPRBlocks: 42
; NumSGPRsForWavesPerEU: 54
; NumVGPRsForWavesPerEU: 338
; AccumOffset: 256
; Occupancy: 1
; WaveLimiterHint : 1
; COMPUTE_PGM_RSRC2:SCRATCH_EN: 0
; COMPUTE_PGM_RSRC2:USER_SGPR: 2
; COMPUTE_PGM_RSRC2:TRAP_HANDLER: 0
; COMPUTE_PGM_RSRC2:TGID_X_EN: 1
; COMPUTE_PGM_RSRC2:TGID_Y_EN: 0
; COMPUTE_PGM_RSRC2:TGID_Z_EN: 0
; COMPUTE_PGM_RSRC2:TIDIG_COMP_CNT: 0
; COMPUTE_PGM_RSRC3_GFX90A:ACCUM_OFFSET: 63
; COMPUTE_PGM_RSRC3_GFX90A:TG_SPLIT: 0
	.text
	.p2alignl 6, 3212836864
	.fill 256, 4, 3212836864
	.type	__hip_cuid_1659fd9bee94d1d0,@object ; @__hip_cuid_1659fd9bee94d1d0
	.section	.bss,"aw",@nobits
	.globl	__hip_cuid_1659fd9bee94d1d0
__hip_cuid_1659fd9bee94d1d0:
	.byte	0                               ; 0x0
	.size	__hip_cuid_1659fd9bee94d1d0, 1

	.ident	"AMD clang version 19.0.0git (https://github.com/RadeonOpenCompute/llvm-project roc-6.4.0 25133 c7fe45cf4b819c5991fe208aaa96edf142730f1d)"
	.section	".note.GNU-stack","",@progbits
	.addrsig
	.addrsig_sym __hip_cuid_1659fd9bee94d1d0
	.amdgpu_metadata
---
amdhsa.kernels:
  - .agpr_count:     82
    .args:
      - .actual_access:  read_only
        .address_space:  global
        .offset:         0
        .size:           8
        .value_kind:     global_buffer
      - .actual_access:  read_only
        .address_space:  global
        .offset:         8
        .size:           8
        .value_kind:     global_buffer
      - .actual_access:  read_only
        .address_space:  global
        .offset:         16
        .size:           8
        .value_kind:     global_buffer
      - .actual_access:  read_only
        .address_space:  global
        .offset:         24
        .size:           8
        .value_kind:     global_buffer
      - .actual_access:  read_only
        .address_space:  global
        .offset:         32
        .size:           8
        .value_kind:     global_buffer
      - .offset:         40
        .size:           8
        .value_kind:     by_value
      - .address_space:  global
        .offset:         48
        .size:           8
        .value_kind:     global_buffer
      - .address_space:  global
        .offset:         56
        .size:           8
        .value_kind:     global_buffer
      - .address_space:  global
        .offset:         64
        .size:           8
        .value_kind:     global_buffer
      - .address_space:  global
        .offset:         72
        .size:           8
        .value_kind:     global_buffer
      - .offset:         80
        .size:           4
        .value_kind:     by_value
      - .address_space:  global
        .offset:         88
        .size:           8
        .value_kind:     global_buffer
      - .address_space:  global
        .offset:         96
        .size:           8
        .value_kind:     global_buffer
    .group_segment_fixed_size: 28512
    .kernarg_segment_align: 8
    .kernarg_segment_size: 104
    .language:       OpenCL C
    .language_version:
      - 2
      - 0
    .max_flat_workgroup_size: 198
    .name:           bluestein_single_fwd_len1188_dim1_sp_op_CI_CI
    .private_segment_fixed_size: 0
    .sgpr_count:     54
    .sgpr_spill_count: 0
    .symbol:         bluestein_single_fwd_len1188_dim1_sp_op_CI_CI.kd
    .uniform_work_group_size: 1
    .uses_dynamic_stack: false
    .vgpr_count:     338
    .vgpr_spill_count: 0
    .wavefront_size: 64
amdhsa.target:   amdgcn-amd-amdhsa--gfx950
amdhsa.version:
  - 1
  - 2
...

	.end_amdgpu_metadata
